;; amdgpu-corpus repo=ROCm/rocBLAS kind=compiled arch=gfx1100 opt=O3
	.text
	.amdgcn_target "amdgcn-amd-amdhsa--gfx1100"
	.amdhsa_code_object_version 6
	.section	.text._ZL18rocblas_rot_kernelIiLi512EfPfS0_PKfS2_EviT2_lllT3_lllT4_lT5_li,"axG",@progbits,_ZL18rocblas_rot_kernelIiLi512EfPfS0_PKfS2_EviT2_lllT3_lllT4_lT5_li,comdat
	.globl	_ZL18rocblas_rot_kernelIiLi512EfPfS0_PKfS2_EviT2_lllT3_lllT4_lT5_li ; -- Begin function _ZL18rocblas_rot_kernelIiLi512EfPfS0_PKfS2_EviT2_lllT3_lllT4_lT5_li
	.p2align	8
	.type	_ZL18rocblas_rot_kernelIiLi512EfPfS0_PKfS2_EviT2_lllT3_lllT4_lT5_li,@function
_ZL18rocblas_rot_kernelIiLi512EfPfS0_PKfS2_EviT2_lllT3_lllT4_lT5_li: ; @_ZL18rocblas_rot_kernelIiLi512EfPfS0_PKfS2_EviT2_lllT3_lllT4_lT5_li
; %bb.0:
	s_clause 0x1
	s_load_b32 s3, s[0:1], 0x7c
	s_load_b32 s2, s[0:1], 0x0
	s_waitcnt lgkmcnt(0)
	s_and_b32 s3, s3, 0xffff
	s_delay_alu instid0(SALU_CYCLE_1)
	v_mad_u64_u32 v[1:2], null, s14, s3, v[0:1]
	v_mov_b32_e32 v2, 0
	s_ashr_i32 s3, s2, 31
	s_delay_alu instid0(VALU_DEP_1) | instid1(SALU_CYCLE_1)
	v_cmp_gt_i64_e32 vcc_lo, s[2:3], v[1:2]
	s_and_saveexec_b32 s2, vcc_lo
	s_cbranch_execz .LBB0_2
; %bb.1:
	s_load_b512 s[16:31], s[0:1], 0x8
	s_waitcnt lgkmcnt(0)
	v_mad_u64_u32 v[2:3], null, v1, s20, 0
	v_mad_u64_u32 v[4:5], null, v1, s28, 0
	s_mul_i32 s3, s15, s31
	s_mul_hi_u32 s4, s15, s30
	s_mul_i32 s2, s15, s30
	s_add_i32 s3, s4, s3
	s_delay_alu instid0(VALU_DEP_2) | instskip(SKIP_1) | instid1(VALU_DEP_2)
	v_mov_b32_e32 v0, v3
	s_lshl_b64 s[2:3], s[2:3], 2
	v_mov_b32_e32 v3, v5
	s_add_u32 s7, s24, s2
	s_addc_u32 s8, s25, s3
	v_mad_u64_u32 v[5:6], null, v1, s21, v[0:1]
	s_delay_alu instid0(VALU_DEP_2) | instskip(SKIP_4) | instid1(VALU_DEP_2)
	v_mad_u64_u32 v[6:7], null, v1, s29, v[3:4]
	s_lshl_b64 s[2:3], s[26:27], 2
	s_mul_i32 s5, s15, s23
	s_mul_hi_u32 s6, s15, s22
	s_add_u32 s7, s7, s2
	v_mov_b32_e32 v3, v5
	s_mul_i32 s4, s15, s22
	s_addc_u32 s8, s8, s3
	s_add_i32 s5, s6, s5
	v_mov_b32_e32 v5, v6
	s_lshl_b64 s[2:3], s[4:5], 2
	v_lshlrev_b64 v[0:1], 2, v[2:3]
	s_add_u32 s4, s16, s2
	s_addc_u32 s5, s17, s3
	s_lshl_b64 s[2:3], s[18:19], 2
	v_lshlrev_b64 v[2:3], 2, v[4:5]
	s_add_u32 s2, s4, s2
	s_addc_u32 s3, s5, s3
	v_add_co_u32 v0, vcc_lo, s2, v0
	v_add_co_ci_u32_e32 v1, vcc_lo, s3, v1, vcc_lo
	s_delay_alu instid0(VALU_DEP_3)
	v_add_co_u32 v2, vcc_lo, s7, v2
	v_add_co_ci_u32_e32 v3, vcc_lo, s8, v3, vcc_lo
	global_load_b32 v4, v[0:1], off
	global_load_b32 v5, v[2:3], off
	s_load_b256 s[0:7], s[0:1], 0x48
	s_waitcnt lgkmcnt(0)
	s_mul_i32 s7, s15, s7
	s_mul_hi_u32 s8, s15, s6
	s_mul_i32 s6, s15, s6
	s_add_i32 s7, s8, s7
	s_mul_i32 s3, s15, s3
	s_lshl_b64 s[6:7], s[6:7], 2
	s_mul_hi_u32 s8, s15, s2
	s_add_u32 s4, s4, s6
	s_mul_i32 s2, s15, s2
	s_addc_u32 s5, s5, s7
	s_add_i32 s3, s8, s3
	s_load_b32 s4, s[4:5], 0x0
	s_lshl_b64 s[2:3], s[2:3], 2
	s_delay_alu instid0(SALU_CYCLE_1) | instskip(SKIP_4) | instid1(VALU_DEP_1)
	s_add_u32 s0, s0, s2
	s_addc_u32 s1, s1, s3
	s_load_b32 s0, s[0:1], 0x0
	s_waitcnt vmcnt(0) lgkmcnt(0)
	v_dual_mul_f32 v6, s4, v4 :: v_dual_mul_f32 v7, s4, v5
	v_fma_f32 v5, s0, v5, -v6
	s_delay_alu instid0(VALU_DEP_2)
	v_fmac_f32_e32 v7, s0, v4
	global_store_b32 v[2:3], v5, off
	global_store_b32 v[0:1], v7, off
.LBB0_2:
	s_nop 0
	s_sendmsg sendmsg(MSG_DEALLOC_VGPRS)
	s_endpgm
	.section	.rodata,"a",@progbits
	.p2align	6, 0x0
	.amdhsa_kernel _ZL18rocblas_rot_kernelIiLi512EfPfS0_PKfS2_EviT2_lllT3_lllT4_lT5_li
		.amdhsa_group_segment_fixed_size 0
		.amdhsa_private_segment_fixed_size 0
		.amdhsa_kernarg_size 368
		.amdhsa_user_sgpr_count 14
		.amdhsa_user_sgpr_dispatch_ptr 0
		.amdhsa_user_sgpr_queue_ptr 0
		.amdhsa_user_sgpr_kernarg_segment_ptr 1
		.amdhsa_user_sgpr_dispatch_id 0
		.amdhsa_user_sgpr_private_segment_size 0
		.amdhsa_wavefront_size32 1
		.amdhsa_uses_dynamic_stack 0
		.amdhsa_enable_private_segment 0
		.amdhsa_system_sgpr_workgroup_id_x 1
		.amdhsa_system_sgpr_workgroup_id_y 0
		.amdhsa_system_sgpr_workgroup_id_z 1
		.amdhsa_system_sgpr_workgroup_info 0
		.amdhsa_system_vgpr_workitem_id 0
		.amdhsa_next_free_vgpr 8
		.amdhsa_next_free_sgpr 32
		.amdhsa_reserve_vcc 1
		.amdhsa_float_round_mode_32 0
		.amdhsa_float_round_mode_16_64 0
		.amdhsa_float_denorm_mode_32 3
		.amdhsa_float_denorm_mode_16_64 3
		.amdhsa_dx10_clamp 1
		.amdhsa_ieee_mode 1
		.amdhsa_fp16_overflow 0
		.amdhsa_workgroup_processor_mode 1
		.amdhsa_memory_ordered 1
		.amdhsa_forward_progress 0
		.amdhsa_shared_vgpr_count 0
		.amdhsa_exception_fp_ieee_invalid_op 0
		.amdhsa_exception_fp_denorm_src 0
		.amdhsa_exception_fp_ieee_div_zero 0
		.amdhsa_exception_fp_ieee_overflow 0
		.amdhsa_exception_fp_ieee_underflow 0
		.amdhsa_exception_fp_ieee_inexact 0
		.amdhsa_exception_int_div_zero 0
	.end_amdhsa_kernel
	.section	.text._ZL18rocblas_rot_kernelIiLi512EfPfS0_PKfS2_EviT2_lllT3_lllT4_lT5_li,"axG",@progbits,_ZL18rocblas_rot_kernelIiLi512EfPfS0_PKfS2_EviT2_lllT3_lllT4_lT5_li,comdat
.Lfunc_end0:
	.size	_ZL18rocblas_rot_kernelIiLi512EfPfS0_PKfS2_EviT2_lllT3_lllT4_lT5_li, .Lfunc_end0-_ZL18rocblas_rot_kernelIiLi512EfPfS0_PKfS2_EviT2_lllT3_lllT4_lT5_li
                                        ; -- End function
	.section	.AMDGPU.csdata,"",@progbits
; Kernel info:
; codeLenInByte = 420
; NumSgprs: 34
; NumVgprs: 8
; ScratchSize: 0
; MemoryBound: 0
; FloatMode: 240
; IeeeMode: 1
; LDSByteSize: 0 bytes/workgroup (compile time only)
; SGPRBlocks: 4
; VGPRBlocks: 0
; NumSGPRsForWavesPerEU: 34
; NumVGPRsForWavesPerEU: 8
; Occupancy: 16
; WaveLimiterHint : 0
; COMPUTE_PGM_RSRC2:SCRATCH_EN: 0
; COMPUTE_PGM_RSRC2:USER_SGPR: 14
; COMPUTE_PGM_RSRC2:TRAP_HANDLER: 0
; COMPUTE_PGM_RSRC2:TGID_X_EN: 1
; COMPUTE_PGM_RSRC2:TGID_Y_EN: 0
; COMPUTE_PGM_RSRC2:TGID_Z_EN: 1
; COMPUTE_PGM_RSRC2:TIDIG_COMP_CNT: 0
	.section	.text._ZL18rocblas_rot_kernelIiLi512EfPfS0_ffEviT2_lllT3_lllT4_lT5_li,"axG",@progbits,_ZL18rocblas_rot_kernelIiLi512EfPfS0_ffEviT2_lllT3_lllT4_lT5_li,comdat
	.globl	_ZL18rocblas_rot_kernelIiLi512EfPfS0_ffEviT2_lllT3_lllT4_lT5_li ; -- Begin function _ZL18rocblas_rot_kernelIiLi512EfPfS0_ffEviT2_lllT3_lllT4_lT5_li
	.p2align	8
	.type	_ZL18rocblas_rot_kernelIiLi512EfPfS0_ffEviT2_lllT3_lllT4_lT5_li,@function
_ZL18rocblas_rot_kernelIiLi512EfPfS0_ffEviT2_lllT3_lllT4_lT5_li: ; @_ZL18rocblas_rot_kernelIiLi512EfPfS0_ffEviT2_lllT3_lllT4_lT5_li
; %bb.0:
	s_clause 0x1
	s_load_b32 s3, s[0:1], 0x7c
	s_load_b32 s2, s[0:1], 0x0
	s_waitcnt lgkmcnt(0)
	s_and_b32 s3, s3, 0xffff
	s_delay_alu instid0(SALU_CYCLE_1)
	v_mad_u64_u32 v[1:2], null, s14, s3, v[0:1]
	v_mov_b32_e32 v2, 0
	s_ashr_i32 s3, s2, 31
	s_delay_alu instid0(VALU_DEP_1) | instid1(SALU_CYCLE_1)
	v_cmp_gt_i64_e32 vcc_lo, s[2:3], v[1:2]
	s_and_saveexec_b32 s2, vcc_lo
	s_cbranch_execz .LBB1_2
; %bb.1:
	s_load_b512 s[16:31], s[0:1], 0x8
	s_waitcnt lgkmcnt(0)
	v_mad_u64_u32 v[2:3], null, v1, s20, 0
	v_mad_u64_u32 v[4:5], null, v1, s28, 0
	s_mul_i32 s3, s15, s31
	s_mul_hi_u32 s4, s15, s30
	s_mul_i32 s2, s15, s30
	s_add_i32 s3, s4, s3
	s_delay_alu instid0(VALU_DEP_2) | instskip(SKIP_1) | instid1(VALU_DEP_2)
	v_mov_b32_e32 v0, v3
	s_lshl_b64 s[2:3], s[2:3], 2
	v_mov_b32_e32 v3, v5
	s_add_u32 s7, s24, s2
	s_addc_u32 s8, s25, s3
	v_mad_u64_u32 v[5:6], null, v1, s21, v[0:1]
	s_delay_alu instid0(VALU_DEP_2) | instskip(SKIP_4) | instid1(VALU_DEP_2)
	v_mad_u64_u32 v[6:7], null, v1, s29, v[3:4]
	s_lshl_b64 s[2:3], s[26:27], 2
	s_mul_i32 s5, s15, s23
	s_mul_hi_u32 s6, s15, s22
	s_add_u32 s7, s7, s2
	v_mov_b32_e32 v3, v5
	s_mul_i32 s4, s15, s22
	s_addc_u32 s8, s8, s3
	s_add_i32 s5, s6, s5
	v_mov_b32_e32 v5, v6
	s_lshl_b64 s[2:3], s[4:5], 2
	v_lshlrev_b64 v[0:1], 2, v[2:3]
	s_add_u32 s4, s16, s2
	s_addc_u32 s5, s17, s3
	s_lshl_b64 s[2:3], s[18:19], 2
	v_lshlrev_b64 v[2:3], 2, v[4:5]
	s_add_u32 s2, s4, s2
	s_addc_u32 s3, s5, s3
	v_add_co_u32 v0, vcc_lo, s2, v0
	v_add_co_ci_u32_e32 v1, vcc_lo, s3, v1, vcc_lo
	s_delay_alu instid0(VALU_DEP_3)
	v_add_co_u32 v2, vcc_lo, s7, v2
	v_add_co_ci_u32_e32 v3, vcc_lo, s8, v3, vcc_lo
	global_load_b32 v4, v[0:1], off
	global_load_b32 v5, v[2:3], off
	s_clause 0x1
	s_load_b32 s2, s[0:1], 0x58
	s_load_b32 s0, s[0:1], 0x48
	s_waitcnt vmcnt(0) lgkmcnt(0)
	v_dual_mul_f32 v6, s2, v4 :: v_dual_mul_f32 v7, s2, v5
	s_delay_alu instid0(VALU_DEP_1) | instskip(NEXT) | instid1(VALU_DEP_2)
	v_fma_f32 v5, v5, s0, -v6
	v_fmac_f32_e32 v7, s0, v4
	global_store_b32 v[2:3], v5, off
	global_store_b32 v[0:1], v7, off
.LBB1_2:
	s_nop 0
	s_sendmsg sendmsg(MSG_DEALLOC_VGPRS)
	s_endpgm
	.section	.rodata,"a",@progbits
	.p2align	6, 0x0
	.amdhsa_kernel _ZL18rocblas_rot_kernelIiLi512EfPfS0_ffEviT2_lllT3_lllT4_lT5_li
		.amdhsa_group_segment_fixed_size 0
		.amdhsa_private_segment_fixed_size 0
		.amdhsa_kernarg_size 368
		.amdhsa_user_sgpr_count 14
		.amdhsa_user_sgpr_dispatch_ptr 0
		.amdhsa_user_sgpr_queue_ptr 0
		.amdhsa_user_sgpr_kernarg_segment_ptr 1
		.amdhsa_user_sgpr_dispatch_id 0
		.amdhsa_user_sgpr_private_segment_size 0
		.amdhsa_wavefront_size32 1
		.amdhsa_uses_dynamic_stack 0
		.amdhsa_enable_private_segment 0
		.amdhsa_system_sgpr_workgroup_id_x 1
		.amdhsa_system_sgpr_workgroup_id_y 0
		.amdhsa_system_sgpr_workgroup_id_z 1
		.amdhsa_system_sgpr_workgroup_info 0
		.amdhsa_system_vgpr_workitem_id 0
		.amdhsa_next_free_vgpr 8
		.amdhsa_next_free_sgpr 32
		.amdhsa_reserve_vcc 1
		.amdhsa_float_round_mode_32 0
		.amdhsa_float_round_mode_16_64 0
		.amdhsa_float_denorm_mode_32 3
		.amdhsa_float_denorm_mode_16_64 3
		.amdhsa_dx10_clamp 1
		.amdhsa_ieee_mode 1
		.amdhsa_fp16_overflow 0
		.amdhsa_workgroup_processor_mode 1
		.amdhsa_memory_ordered 1
		.amdhsa_forward_progress 0
		.amdhsa_shared_vgpr_count 0
		.amdhsa_exception_fp_ieee_invalid_op 0
		.amdhsa_exception_fp_denorm_src 0
		.amdhsa_exception_fp_ieee_div_zero 0
		.amdhsa_exception_fp_ieee_overflow 0
		.amdhsa_exception_fp_ieee_underflow 0
		.amdhsa_exception_fp_ieee_inexact 0
		.amdhsa_exception_int_div_zero 0
	.end_amdhsa_kernel
	.section	.text._ZL18rocblas_rot_kernelIiLi512EfPfS0_ffEviT2_lllT3_lllT4_lT5_li,"axG",@progbits,_ZL18rocblas_rot_kernelIiLi512EfPfS0_ffEviT2_lllT3_lllT4_lT5_li,comdat
.Lfunc_end1:
	.size	_ZL18rocblas_rot_kernelIiLi512EfPfS0_ffEviT2_lllT3_lllT4_lT5_li, .Lfunc_end1-_ZL18rocblas_rot_kernelIiLi512EfPfS0_ffEviT2_lllT3_lllT4_lT5_li
                                        ; -- End function
	.section	.AMDGPU.csdata,"",@progbits
; Kernel info:
; codeLenInByte = 352
; NumSgprs: 34
; NumVgprs: 8
; ScratchSize: 0
; MemoryBound: 0
; FloatMode: 240
; IeeeMode: 1
; LDSByteSize: 0 bytes/workgroup (compile time only)
; SGPRBlocks: 4
; VGPRBlocks: 0
; NumSGPRsForWavesPerEU: 34
; NumVGPRsForWavesPerEU: 8
; Occupancy: 16
; WaveLimiterHint : 0
; COMPUTE_PGM_RSRC2:SCRATCH_EN: 0
; COMPUTE_PGM_RSRC2:USER_SGPR: 14
; COMPUTE_PGM_RSRC2:TRAP_HANDLER: 0
; COMPUTE_PGM_RSRC2:TGID_X_EN: 1
; COMPUTE_PGM_RSRC2:TGID_Y_EN: 0
; COMPUTE_PGM_RSRC2:TGID_Z_EN: 1
; COMPUTE_PGM_RSRC2:TIDIG_COMP_CNT: 0
	.section	.text._ZL18rocblas_rot_kernelIiLi512EdPdS0_PKdS2_EviT2_lllT3_lllT4_lT5_li,"axG",@progbits,_ZL18rocblas_rot_kernelIiLi512EdPdS0_PKdS2_EviT2_lllT3_lllT4_lT5_li,comdat
	.globl	_ZL18rocblas_rot_kernelIiLi512EdPdS0_PKdS2_EviT2_lllT3_lllT4_lT5_li ; -- Begin function _ZL18rocblas_rot_kernelIiLi512EdPdS0_PKdS2_EviT2_lllT3_lllT4_lT5_li
	.p2align	8
	.type	_ZL18rocblas_rot_kernelIiLi512EdPdS0_PKdS2_EviT2_lllT3_lllT4_lT5_li,@function
_ZL18rocblas_rot_kernelIiLi512EdPdS0_PKdS2_EviT2_lllT3_lllT4_lT5_li: ; @_ZL18rocblas_rot_kernelIiLi512EdPdS0_PKdS2_EviT2_lllT3_lllT4_lT5_li
; %bb.0:
	s_clause 0x1
	s_load_b32 s3, s[0:1], 0x7c
	s_load_b32 s2, s[0:1], 0x0
	s_waitcnt lgkmcnt(0)
	s_and_b32 s3, s3, 0xffff
	s_delay_alu instid0(SALU_CYCLE_1)
	v_mad_u64_u32 v[1:2], null, s14, s3, v[0:1]
	v_mov_b32_e32 v2, 0
	s_ashr_i32 s3, s2, 31
	s_delay_alu instid0(VALU_DEP_1) | instid1(SALU_CYCLE_1)
	v_cmp_gt_i64_e32 vcc_lo, s[2:3], v[1:2]
	s_and_saveexec_b32 s2, vcc_lo
	s_cbranch_execz .LBB2_2
; %bb.1:
	s_load_b512 s[16:31], s[0:1], 0x8
	s_waitcnt lgkmcnt(0)
	v_mad_u64_u32 v[2:3], null, v1, s20, 0
	v_mad_u64_u32 v[4:5], null, v1, s28, 0
	s_mul_i32 s3, s15, s31
	s_mul_hi_u32 s4, s15, s30
	s_mul_i32 s2, s15, s30
	s_add_i32 s3, s4, s3
	s_delay_alu instid0(VALU_DEP_2) | instskip(SKIP_1) | instid1(VALU_DEP_2)
	v_mov_b32_e32 v0, v3
	s_lshl_b64 s[2:3], s[2:3], 3
	v_mov_b32_e32 v3, v5
	s_add_u32 s7, s24, s2
	s_addc_u32 s8, s25, s3
	v_mad_u64_u32 v[5:6], null, v1, s21, v[0:1]
	s_delay_alu instid0(VALU_DEP_2) | instskip(SKIP_4) | instid1(VALU_DEP_2)
	v_mad_u64_u32 v[6:7], null, v1, s29, v[3:4]
	s_lshl_b64 s[2:3], s[26:27], 3
	s_mul_i32 s5, s15, s23
	s_mul_hi_u32 s6, s15, s22
	s_add_u32 s7, s7, s2
	v_mov_b32_e32 v3, v5
	s_mul_i32 s4, s15, s22
	s_addc_u32 s8, s8, s3
	s_add_i32 s5, s6, s5
	v_mov_b32_e32 v5, v6
	s_lshl_b64 s[2:3], s[4:5], 3
	v_lshlrev_b64 v[0:1], 3, v[2:3]
	s_add_u32 s4, s16, s2
	s_addc_u32 s5, s17, s3
	s_lshl_b64 s[2:3], s[18:19], 3
	v_lshlrev_b64 v[2:3], 3, v[4:5]
	s_add_u32 s2, s4, s2
	s_addc_u32 s3, s5, s3
	v_add_co_u32 v0, vcc_lo, s2, v0
	v_add_co_ci_u32_e32 v1, vcc_lo, s3, v1, vcc_lo
	s_delay_alu instid0(VALU_DEP_3)
	v_add_co_u32 v2, vcc_lo, s7, v2
	v_add_co_ci_u32_e32 v3, vcc_lo, s8, v3, vcc_lo
	global_load_b64 v[4:5], v[0:1], off
	global_load_b64 v[6:7], v[2:3], off
	s_load_b256 s[0:7], s[0:1], 0x48
	s_waitcnt lgkmcnt(0)
	s_mul_i32 s7, s15, s7
	s_mul_hi_u32 s8, s15, s6
	s_mul_i32 s6, s15, s6
	s_add_i32 s7, s8, s7
	s_mul_i32 s3, s15, s3
	s_lshl_b64 s[6:7], s[6:7], 3
	s_delay_alu instid0(SALU_CYCLE_1)
	s_add_u32 s4, s4, s6
	s_addc_u32 s5, s5, s7
	s_load_b64 s[4:5], s[4:5], 0x0
	s_waitcnt vmcnt(1) lgkmcnt(0)
	v_mul_f64 v[8:9], s[4:5], v[4:5]
	s_waitcnt vmcnt(0)
	v_mul_f64 v[10:11], s[4:5], v[6:7]
	s_mul_hi_u32 s4, s15, s2
	s_mul_i32 s2, s15, s2
	s_add_i32 s3, s4, s3
	s_delay_alu instid0(SALU_CYCLE_1) | instskip(NEXT) | instid1(SALU_CYCLE_1)
	s_lshl_b64 s[2:3], s[2:3], 3
	s_add_u32 s0, s0, s2
	s_addc_u32 s1, s1, s3
	s_load_b64 s[0:1], s[0:1], 0x0
	s_waitcnt lgkmcnt(0)
	s_delay_alu instid0(VALU_DEP_2) | instskip(NEXT) | instid1(VALU_DEP_2)
	v_fma_f64 v[6:7], s[0:1], v[6:7], -v[8:9]
	v_fma_f64 v[4:5], s[0:1], v[4:5], v[10:11]
	global_store_b64 v[2:3], v[6:7], off
	global_store_b64 v[0:1], v[4:5], off
.LBB2_2:
	s_nop 0
	s_sendmsg sendmsg(MSG_DEALLOC_VGPRS)
	s_endpgm
	.section	.rodata,"a",@progbits
	.p2align	6, 0x0
	.amdhsa_kernel _ZL18rocblas_rot_kernelIiLi512EdPdS0_PKdS2_EviT2_lllT3_lllT4_lT5_li
		.amdhsa_group_segment_fixed_size 0
		.amdhsa_private_segment_fixed_size 0
		.amdhsa_kernarg_size 368
		.amdhsa_user_sgpr_count 14
		.amdhsa_user_sgpr_dispatch_ptr 0
		.amdhsa_user_sgpr_queue_ptr 0
		.amdhsa_user_sgpr_kernarg_segment_ptr 1
		.amdhsa_user_sgpr_dispatch_id 0
		.amdhsa_user_sgpr_private_segment_size 0
		.amdhsa_wavefront_size32 1
		.amdhsa_uses_dynamic_stack 0
		.amdhsa_enable_private_segment 0
		.amdhsa_system_sgpr_workgroup_id_x 1
		.amdhsa_system_sgpr_workgroup_id_y 0
		.amdhsa_system_sgpr_workgroup_id_z 1
		.amdhsa_system_sgpr_workgroup_info 0
		.amdhsa_system_vgpr_workitem_id 0
		.amdhsa_next_free_vgpr 12
		.amdhsa_next_free_sgpr 32
		.amdhsa_reserve_vcc 1
		.amdhsa_float_round_mode_32 0
		.amdhsa_float_round_mode_16_64 0
		.amdhsa_float_denorm_mode_32 3
		.amdhsa_float_denorm_mode_16_64 3
		.amdhsa_dx10_clamp 1
		.amdhsa_ieee_mode 1
		.amdhsa_fp16_overflow 0
		.amdhsa_workgroup_processor_mode 1
		.amdhsa_memory_ordered 1
		.amdhsa_forward_progress 0
		.amdhsa_shared_vgpr_count 0
		.amdhsa_exception_fp_ieee_invalid_op 0
		.amdhsa_exception_fp_denorm_src 0
		.amdhsa_exception_fp_ieee_div_zero 0
		.amdhsa_exception_fp_ieee_overflow 0
		.amdhsa_exception_fp_ieee_underflow 0
		.amdhsa_exception_fp_ieee_inexact 0
		.amdhsa_exception_int_div_zero 0
	.end_amdhsa_kernel
	.section	.text._ZL18rocblas_rot_kernelIiLi512EdPdS0_PKdS2_EviT2_lllT3_lllT4_lT5_li,"axG",@progbits,_ZL18rocblas_rot_kernelIiLi512EdPdS0_PKdS2_EviT2_lllT3_lllT4_lT5_li,comdat
.Lfunc_end2:
	.size	_ZL18rocblas_rot_kernelIiLi512EdPdS0_PKdS2_EviT2_lllT3_lllT4_lT5_li, .Lfunc_end2-_ZL18rocblas_rot_kernelIiLi512EdPdS0_PKdS2_EviT2_lllT3_lllT4_lT5_li
                                        ; -- End function
	.section	.AMDGPU.csdata,"",@progbits
; Kernel info:
; codeLenInByte = 444
; NumSgprs: 34
; NumVgprs: 12
; ScratchSize: 0
; MemoryBound: 0
; FloatMode: 240
; IeeeMode: 1
; LDSByteSize: 0 bytes/workgroup (compile time only)
; SGPRBlocks: 4
; VGPRBlocks: 1
; NumSGPRsForWavesPerEU: 34
; NumVGPRsForWavesPerEU: 12
; Occupancy: 16
; WaveLimiterHint : 0
; COMPUTE_PGM_RSRC2:SCRATCH_EN: 0
; COMPUTE_PGM_RSRC2:USER_SGPR: 14
; COMPUTE_PGM_RSRC2:TRAP_HANDLER: 0
; COMPUTE_PGM_RSRC2:TGID_X_EN: 1
; COMPUTE_PGM_RSRC2:TGID_Y_EN: 0
; COMPUTE_PGM_RSRC2:TGID_Z_EN: 1
; COMPUTE_PGM_RSRC2:TIDIG_COMP_CNT: 0
	.section	.text._ZL18rocblas_rot_kernelIiLi512EdPdS0_ddEviT2_lllT3_lllT4_lT5_li,"axG",@progbits,_ZL18rocblas_rot_kernelIiLi512EdPdS0_ddEviT2_lllT3_lllT4_lT5_li,comdat
	.globl	_ZL18rocblas_rot_kernelIiLi512EdPdS0_ddEviT2_lllT3_lllT4_lT5_li ; -- Begin function _ZL18rocblas_rot_kernelIiLi512EdPdS0_ddEviT2_lllT3_lllT4_lT5_li
	.p2align	8
	.type	_ZL18rocblas_rot_kernelIiLi512EdPdS0_ddEviT2_lllT3_lllT4_lT5_li,@function
_ZL18rocblas_rot_kernelIiLi512EdPdS0_ddEviT2_lllT3_lllT4_lT5_li: ; @_ZL18rocblas_rot_kernelIiLi512EdPdS0_ddEviT2_lllT3_lllT4_lT5_li
; %bb.0:
	s_clause 0x1
	s_load_b32 s3, s[0:1], 0x7c
	s_load_b32 s2, s[0:1], 0x0
	s_waitcnt lgkmcnt(0)
	s_and_b32 s3, s3, 0xffff
	s_delay_alu instid0(SALU_CYCLE_1)
	v_mad_u64_u32 v[1:2], null, s14, s3, v[0:1]
	v_mov_b32_e32 v2, 0
	s_ashr_i32 s3, s2, 31
	s_delay_alu instid0(VALU_DEP_1) | instid1(SALU_CYCLE_1)
	v_cmp_gt_i64_e32 vcc_lo, s[2:3], v[1:2]
	s_and_saveexec_b32 s2, vcc_lo
	s_cbranch_execz .LBB3_2
; %bb.1:
	s_load_b512 s[16:31], s[0:1], 0x8
	s_waitcnt lgkmcnt(0)
	v_mad_u64_u32 v[2:3], null, v1, s20, 0
	v_mad_u64_u32 v[4:5], null, v1, s28, 0
	s_mul_i32 s3, s15, s31
	s_mul_hi_u32 s4, s15, s30
	s_mul_i32 s2, s15, s30
	s_add_i32 s3, s4, s3
	s_delay_alu instid0(VALU_DEP_2) | instskip(SKIP_1) | instid1(VALU_DEP_2)
	v_mov_b32_e32 v0, v3
	s_lshl_b64 s[2:3], s[2:3], 3
	v_mov_b32_e32 v3, v5
	s_add_u32 s7, s24, s2
	s_addc_u32 s8, s25, s3
	v_mad_u64_u32 v[5:6], null, v1, s21, v[0:1]
	s_delay_alu instid0(VALU_DEP_2) | instskip(SKIP_4) | instid1(VALU_DEP_2)
	v_mad_u64_u32 v[6:7], null, v1, s29, v[3:4]
	s_lshl_b64 s[2:3], s[26:27], 3
	s_mul_i32 s5, s15, s23
	s_mul_hi_u32 s6, s15, s22
	s_add_u32 s7, s7, s2
	v_mov_b32_e32 v3, v5
	s_mul_i32 s4, s15, s22
	s_addc_u32 s8, s8, s3
	s_add_i32 s5, s6, s5
	v_mov_b32_e32 v5, v6
	s_lshl_b64 s[2:3], s[4:5], 3
	v_lshlrev_b64 v[0:1], 3, v[2:3]
	s_add_u32 s4, s16, s2
	s_addc_u32 s5, s17, s3
	s_lshl_b64 s[2:3], s[18:19], 3
	v_lshlrev_b64 v[2:3], 3, v[4:5]
	s_add_u32 s2, s4, s2
	s_addc_u32 s3, s5, s3
	v_add_co_u32 v0, vcc_lo, s2, v0
	v_add_co_ci_u32_e32 v1, vcc_lo, s3, v1, vcc_lo
	s_delay_alu instid0(VALU_DEP_3)
	v_add_co_u32 v2, vcc_lo, s7, v2
	v_add_co_ci_u32_e32 v3, vcc_lo, s8, v3, vcc_lo
	global_load_b64 v[4:5], v[0:1], off
	global_load_b64 v[6:7], v[2:3], off
	s_clause 0x1
	s_load_b64 s[2:3], s[0:1], 0x58
	s_load_b64 s[0:1], s[0:1], 0x48
	s_waitcnt vmcnt(1) lgkmcnt(0)
	v_mul_f64 v[8:9], v[4:5], s[2:3]
	s_waitcnt vmcnt(0)
	v_mul_f64 v[10:11], v[6:7], s[2:3]
	s_delay_alu instid0(VALU_DEP_2) | instskip(NEXT) | instid1(VALU_DEP_2)
	v_fma_f64 v[6:7], v[6:7], s[0:1], -v[8:9]
	v_fma_f64 v[4:5], v[4:5], s[0:1], v[10:11]
	global_store_b64 v[2:3], v[6:7], off
	global_store_b64 v[0:1], v[4:5], off
.LBB3_2:
	s_nop 0
	s_sendmsg sendmsg(MSG_DEALLOC_VGPRS)
	s_endpgm
	.section	.rodata,"a",@progbits
	.p2align	6, 0x0
	.amdhsa_kernel _ZL18rocblas_rot_kernelIiLi512EdPdS0_ddEviT2_lllT3_lllT4_lT5_li
		.amdhsa_group_segment_fixed_size 0
		.amdhsa_private_segment_fixed_size 0
		.amdhsa_kernarg_size 368
		.amdhsa_user_sgpr_count 14
		.amdhsa_user_sgpr_dispatch_ptr 0
		.amdhsa_user_sgpr_queue_ptr 0
		.amdhsa_user_sgpr_kernarg_segment_ptr 1
		.amdhsa_user_sgpr_dispatch_id 0
		.amdhsa_user_sgpr_private_segment_size 0
		.amdhsa_wavefront_size32 1
		.amdhsa_uses_dynamic_stack 0
		.amdhsa_enable_private_segment 0
		.amdhsa_system_sgpr_workgroup_id_x 1
		.amdhsa_system_sgpr_workgroup_id_y 0
		.amdhsa_system_sgpr_workgroup_id_z 1
		.amdhsa_system_sgpr_workgroup_info 0
		.amdhsa_system_vgpr_workitem_id 0
		.amdhsa_next_free_vgpr 12
		.amdhsa_next_free_sgpr 32
		.amdhsa_reserve_vcc 1
		.amdhsa_float_round_mode_32 0
		.amdhsa_float_round_mode_16_64 0
		.amdhsa_float_denorm_mode_32 3
		.amdhsa_float_denorm_mode_16_64 3
		.amdhsa_dx10_clamp 1
		.amdhsa_ieee_mode 1
		.amdhsa_fp16_overflow 0
		.amdhsa_workgroup_processor_mode 1
		.amdhsa_memory_ordered 1
		.amdhsa_forward_progress 0
		.amdhsa_shared_vgpr_count 0
		.amdhsa_exception_fp_ieee_invalid_op 0
		.amdhsa_exception_fp_denorm_src 0
		.amdhsa_exception_fp_ieee_div_zero 0
		.amdhsa_exception_fp_ieee_overflow 0
		.amdhsa_exception_fp_ieee_underflow 0
		.amdhsa_exception_fp_ieee_inexact 0
		.amdhsa_exception_int_div_zero 0
	.end_amdhsa_kernel
	.section	.text._ZL18rocblas_rot_kernelIiLi512EdPdS0_ddEviT2_lllT3_lllT4_lT5_li,"axG",@progbits,_ZL18rocblas_rot_kernelIiLi512EdPdS0_ddEviT2_lllT3_lllT4_lT5_li,comdat
.Lfunc_end3:
	.size	_ZL18rocblas_rot_kernelIiLi512EdPdS0_ddEviT2_lllT3_lllT4_lT5_li, .Lfunc_end3-_ZL18rocblas_rot_kernelIiLi512EdPdS0_ddEviT2_lllT3_lllT4_lT5_li
                                        ; -- End function
	.section	.AMDGPU.csdata,"",@progbits
; Kernel info:
; codeLenInByte = 368
; NumSgprs: 34
; NumVgprs: 12
; ScratchSize: 0
; MemoryBound: 0
; FloatMode: 240
; IeeeMode: 1
; LDSByteSize: 0 bytes/workgroup (compile time only)
; SGPRBlocks: 4
; VGPRBlocks: 1
; NumSGPRsForWavesPerEU: 34
; NumVGPRsForWavesPerEU: 12
; Occupancy: 16
; WaveLimiterHint : 0
; COMPUTE_PGM_RSRC2:SCRATCH_EN: 0
; COMPUTE_PGM_RSRC2:USER_SGPR: 14
; COMPUTE_PGM_RSRC2:TRAP_HANDLER: 0
; COMPUTE_PGM_RSRC2:TGID_X_EN: 1
; COMPUTE_PGM_RSRC2:TGID_Y_EN: 0
; COMPUTE_PGM_RSRC2:TGID_Z_EN: 1
; COMPUTE_PGM_RSRC2:TIDIG_COMP_CNT: 0
	.section	.text._ZL18rocblas_rot_kernelIiLi512EfP16rocblas_bfloat16S1_PKS0_S3_EviT2_lllT3_lllT4_lT5_li,"axG",@progbits,_ZL18rocblas_rot_kernelIiLi512EfP16rocblas_bfloat16S1_PKS0_S3_EviT2_lllT3_lllT4_lT5_li,comdat
	.globl	_ZL18rocblas_rot_kernelIiLi512EfP16rocblas_bfloat16S1_PKS0_S3_EviT2_lllT3_lllT4_lT5_li ; -- Begin function _ZL18rocblas_rot_kernelIiLi512EfP16rocblas_bfloat16S1_PKS0_S3_EviT2_lllT3_lllT4_lT5_li
	.p2align	8
	.type	_ZL18rocblas_rot_kernelIiLi512EfP16rocblas_bfloat16S1_PKS0_S3_EviT2_lllT3_lllT4_lT5_li,@function
_ZL18rocblas_rot_kernelIiLi512EfP16rocblas_bfloat16S1_PKS0_S3_EviT2_lllT3_lllT4_lT5_li: ; @_ZL18rocblas_rot_kernelIiLi512EfP16rocblas_bfloat16S1_PKS0_S3_EviT2_lllT3_lllT4_lT5_li
; %bb.0:
	s_clause 0x1
	s_load_b32 s3, s[0:1], 0x7c
	s_load_b32 s2, s[0:1], 0x0
	s_waitcnt lgkmcnt(0)
	s_and_b32 s3, s3, 0xffff
	s_delay_alu instid0(SALU_CYCLE_1)
	v_mad_u64_u32 v[2:3], null, s14, s3, v[0:1]
	v_mov_b32_e32 v3, 0
	s_ashr_i32 s3, s2, 31
	s_delay_alu instid0(VALU_DEP_1) | instid1(SALU_CYCLE_1)
	v_cmp_gt_i64_e32 vcc_lo, s[2:3], v[2:3]
	s_and_saveexec_b32 s2, vcc_lo
	s_cbranch_execz .LBB4_26
; %bb.1:
	s_clause 0x1
	s_load_b512 s[16:31], s[0:1], 0x8
	s_load_b256 s[0:7], s[0:1], 0x48
	s_waitcnt lgkmcnt(0)
	v_mad_u64_u32 v[0:1], null, v2, s20, 0
	s_mul_i32 s7, s15, s7
	s_mul_hi_u32 s8, s15, s6
	s_mul_i32 s6, s15, s6
	s_add_i32 s7, s8, s7
	s_mul_i32 s9, s15, s23
	s_lshl_b64 s[6:7], s[6:7], 1
	s_delay_alu instid0(VALU_DEP_1)
	v_mad_u64_u32 v[4:5], null, v2, s21, v[1:2]
	s_mul_hi_u32 s10, s15, s22
	s_add_u32 s4, s4, s6
	s_mul_i32 s8, s15, s22
	s_addc_u32 s5, s5, s7
	s_add_i32 s9, s10, s9
	s_mul_i32 s3, s15, s3
	s_delay_alu instid0(VALU_DEP_1)
	v_mov_b32_e32 v1, v4
	s_lshl_b64 s[6:7], s[8:9], 1
	s_mul_hi_u32 s8, s15, s2
	s_add_u32 s9, s16, s6
	s_addc_u32 s10, s17, s7
	v_lshlrev_b64 v[0:1], 1, v[0:1]
	s_lshl_b64 s[6:7], s[18:19], 1
	s_mul_i32 s2, s15, s2
	s_add_u32 s6, s9, s6
	s_addc_u32 s7, s10, s7
	s_add_i32 s3, s8, s3
	v_add_co_u32 v0, vcc_lo, s6, v0
	v_add_co_ci_u32_e32 v1, vcc_lo, s7, v1, vcc_lo
	s_lshl_b64 s[2:3], s[2:3], 1
	s_delay_alu instid0(SALU_CYCLE_1)
	s_add_u32 s0, s0, s2
	s_addc_u32 s1, s1, s3
	global_load_u16 v4, v[0:1], off
	s_clause 0x1
	global_load_u16 v7, v3, s[0:1]
	global_load_u16 v6, v3, s[4:5]
	s_waitcnt vmcnt(2)
	v_lshlrev_b32_e32 v5, 16, v4
	s_waitcnt vmcnt(1)
	v_lshlrev_b32_e32 v7, 16, v7
	s_delay_alu instid0(VALU_DEP_1) | instskip(NEXT) | instid1(VALU_DEP_1)
	v_mul_f32_e32 v3, v7, v5
	v_and_b32_e32 v4, 0x7f800000, v3
	s_delay_alu instid0(VALU_DEP_1) | instskip(SKIP_1) | instid1(SALU_CYCLE_1)
	v_cmp_ne_u32_e32 vcc_lo, 0x7f800000, v4
                                        ; implicit-def: $vgpr4
	s_and_saveexec_b32 s0, vcc_lo
	s_xor_b32 s0, exec_lo, s0
; %bb.2:
	v_bfe_u32 v4, v3, 16, 1
	s_delay_alu instid0(VALU_DEP_1)
	v_add3_u32 v4, v3, v4, 0x7fff
                                        ; implicit-def: $vgpr3
; %bb.3:
	s_and_not1_saveexec_b32 s0, s0
; %bb.4:
	v_and_b32_e32 v4, 0xffff, v3
	v_or_b32_e32 v8, 0x10000, v3
	s_delay_alu instid0(VALU_DEP_2) | instskip(NEXT) | instid1(VALU_DEP_2)
	v_cmp_eq_u32_e32 vcc_lo, 0, v4
	v_cndmask_b32_e32 v4, v8, v3, vcc_lo
; %bb.5:
	s_or_b32 exec_lo, exec_lo, s0
	v_mad_u64_u32 v[8:9], null, v2, s28, 0
	s_mul_i32 s1, s15, s31
	s_mul_hi_u32 s2, s15, s30
	s_mul_i32 s0, s15, s30
	s_add_i32 s1, s2, s1
	s_delay_alu instid0(SALU_CYCLE_1) | instskip(NEXT) | instid1(VALU_DEP_1)
	s_lshl_b64 s[0:1], s[0:1], 1
	v_mov_b32_e32 v3, v9
	s_add_u32 s2, s24, s0
	s_addc_u32 s3, s25, s1
	s_lshl_b64 s[0:1], s[26:27], 1
	s_delay_alu instid0(SALU_CYCLE_1) | instskip(SKIP_2) | instid1(VALU_DEP_1)
	s_add_u32 s0, s2, s0
	v_mad_u64_u32 v[9:10], null, v2, s29, v[3:4]
	s_addc_u32 s1, s3, s1
	v_lshlrev_b64 v[2:3], 1, v[8:9]
	s_waitcnt vmcnt(0)
	v_lshlrev_b32_e32 v8, 16, v6
	s_delay_alu instid0(VALU_DEP_2) | instskip(NEXT) | instid1(VALU_DEP_3)
	v_add_co_u32 v2, vcc_lo, s0, v2
	v_add_co_ci_u32_e32 v3, vcc_lo, s1, v3, vcc_lo
	global_load_u16 v9, v[2:3], off
	s_waitcnt vmcnt(0)
	v_lshlrev_b32_e32 v9, 16, v9
	s_delay_alu instid0(VALU_DEP_1) | instskip(NEXT) | instid1(VALU_DEP_1)
	v_mul_f32_e32 v10, v8, v9
	v_and_b32_e32 v6, 0x7f800000, v10
	s_delay_alu instid0(VALU_DEP_1) | instskip(SKIP_1) | instid1(SALU_CYCLE_1)
	v_cmp_ne_u32_e32 vcc_lo, 0x7f800000, v6
                                        ; implicit-def: $vgpr6
	s_and_saveexec_b32 s0, vcc_lo
	s_xor_b32 s0, exec_lo, s0
; %bb.6:
	v_bfe_u32 v6, v10, 16, 1
	s_delay_alu instid0(VALU_DEP_1)
	v_add3_u32 v6, v10, v6, 0x7fff
                                        ; implicit-def: $vgpr10
; %bb.7:
	s_and_not1_saveexec_b32 s0, s0
; %bb.8:
	v_and_b32_e32 v6, 0xffff, v10
	v_or_b32_e32 v11, 0x10000, v10
	s_delay_alu instid0(VALU_DEP_2) | instskip(NEXT) | instid1(VALU_DEP_2)
	v_cmp_eq_u32_e32 vcc_lo, 0, v6
	v_cndmask_b32_e32 v6, v11, v10, vcc_lo
; %bb.9:
	s_or_b32 exec_lo, exec_lo, s0
	v_mul_f32_e32 v9, v7, v9
	s_delay_alu instid0(VALU_DEP_1) | instskip(NEXT) | instid1(VALU_DEP_1)
	v_and_b32_e32 v7, 0x7f800000, v9
	v_cmp_ne_u32_e32 vcc_lo, 0x7f800000, v7
                                        ; implicit-def: $vgpr7
	s_and_saveexec_b32 s0, vcc_lo
	s_delay_alu instid0(SALU_CYCLE_1)
	s_xor_b32 s0, exec_lo, s0
; %bb.10:
	v_bfe_u32 v7, v9, 16, 1
	s_delay_alu instid0(VALU_DEP_1)
	v_add3_u32 v7, v9, v7, 0x7fff
                                        ; implicit-def: $vgpr9
; %bb.11:
	s_and_not1_saveexec_b32 s0, s0
; %bb.12:
	v_and_b32_e32 v7, 0xffff, v9
	v_or_b32_e32 v10, 0x10000, v9
	s_delay_alu instid0(VALU_DEP_2) | instskip(NEXT) | instid1(VALU_DEP_2)
	v_cmp_eq_u32_e32 vcc_lo, 0, v7
	v_cndmask_b32_e32 v7, v10, v9, vcc_lo
; %bb.13:
	s_or_b32 exec_lo, exec_lo, s0
	v_mul_f32_e32 v5, v5, v8
	s_delay_alu instid0(VALU_DEP_1) | instskip(NEXT) | instid1(VALU_DEP_1)
	v_and_b32_e32 v8, 0x7f800000, v5
	v_cmp_ne_u32_e32 vcc_lo, 0x7f800000, v8
                                        ; implicit-def: $vgpr8
	s_and_saveexec_b32 s0, vcc_lo
	s_delay_alu instid0(SALU_CYCLE_1)
	s_xor_b32 s0, exec_lo, s0
; %bb.14:
	v_bfe_u32 v8, v5, 16, 1
	s_delay_alu instid0(VALU_DEP_1)
	v_add3_u32 v8, v5, v8, 0x7fff
                                        ; implicit-def: $vgpr5
; %bb.15:
	s_and_not1_saveexec_b32 s0, s0
; %bb.16:
	v_and_b32_e32 v8, 0xffff, v5
	v_or_b32_e32 v9, 0x10000, v5
	s_delay_alu instid0(VALU_DEP_2) | instskip(NEXT) | instid1(VALU_DEP_2)
	v_cmp_eq_u32_e32 vcc_lo, 0, v8
	v_cndmask_b32_e32 v8, v9, v5, vcc_lo
; %bb.17:
	s_or_b32 exec_lo, exec_lo, s0
	v_and_b32_e32 v5, 0xffff0000, v7
	s_delay_alu instid0(VALU_DEP_2) | instskip(NEXT) | instid1(VALU_DEP_1)
	v_and_b32_e32 v7, 0xffff0000, v8
	v_sub_f32_e32 v7, v5, v7
	s_delay_alu instid0(VALU_DEP_1) | instskip(NEXT) | instid1(VALU_DEP_1)
	v_and_b32_e32 v5, 0x7f800000, v7
	v_cmp_ne_u32_e32 vcc_lo, 0x7f800000, v5
                                        ; implicit-def: $vgpr5
	s_and_saveexec_b32 s0, vcc_lo
	s_delay_alu instid0(SALU_CYCLE_1)
	s_xor_b32 s0, exec_lo, s0
; %bb.18:
	v_bfe_u32 v5, v7, 16, 1
	s_delay_alu instid0(VALU_DEP_1)
	v_add3_u32 v5, v7, v5, 0x7fff
                                        ; implicit-def: $vgpr7
; %bb.19:
	s_and_not1_saveexec_b32 s0, s0
; %bb.20:
	v_and_b32_e32 v5, 0xffff, v7
	v_or_b32_e32 v8, 0x10000, v7
	s_delay_alu instid0(VALU_DEP_2) | instskip(NEXT) | instid1(VALU_DEP_2)
	v_cmp_eq_u32_e32 vcc_lo, 0, v5
	v_cndmask_b32_e32 v5, v8, v7, vcc_lo
; %bb.21:
	s_or_b32 exec_lo, exec_lo, s0
	v_and_b32_e32 v4, 0xffff0000, v4
	v_and_b32_e32 v6, 0xffff0000, v6
	s_mov_b32 s0, exec_lo
	global_store_d16_hi_b16 v[2:3], v5, off
                                        ; implicit-def: $vgpr2
	v_add_f32_e32 v4, v4, v6
	s_delay_alu instid0(VALU_DEP_1) | instskip(NEXT) | instid1(VALU_DEP_1)
	v_and_b32_e32 v6, 0x7f800000, v4
	v_cmpx_ne_u32_e32 0x7f800000, v6
	s_xor_b32 s0, exec_lo, s0
; %bb.22:
	v_bfe_u32 v2, v4, 16, 1
	s_delay_alu instid0(VALU_DEP_1)
	v_add3_u32 v2, v4, v2, 0x7fff
                                        ; implicit-def: $vgpr4
; %bb.23:
	s_and_not1_saveexec_b32 s0, s0
; %bb.24:
	v_and_b32_e32 v2, 0xffff, v4
	v_or_b32_e32 v3, 0x10000, v4
	s_delay_alu instid0(VALU_DEP_2) | instskip(NEXT) | instid1(VALU_DEP_2)
	v_cmp_eq_u32_e32 vcc_lo, 0, v2
	v_cndmask_b32_e32 v2, v3, v4, vcc_lo
; %bb.25:
	s_or_b32 exec_lo, exec_lo, s0
	global_store_d16_hi_b16 v[0:1], v2, off
.LBB4_26:
	s_nop 0
	s_sendmsg sendmsg(MSG_DEALLOC_VGPRS)
	s_endpgm
	.section	.rodata,"a",@progbits
	.p2align	6, 0x0
	.amdhsa_kernel _ZL18rocblas_rot_kernelIiLi512EfP16rocblas_bfloat16S1_PKS0_S3_EviT2_lllT3_lllT4_lT5_li
		.amdhsa_group_segment_fixed_size 0
		.amdhsa_private_segment_fixed_size 0
		.amdhsa_kernarg_size 368
		.amdhsa_user_sgpr_count 14
		.amdhsa_user_sgpr_dispatch_ptr 0
		.amdhsa_user_sgpr_queue_ptr 0
		.amdhsa_user_sgpr_kernarg_segment_ptr 1
		.amdhsa_user_sgpr_dispatch_id 0
		.amdhsa_user_sgpr_private_segment_size 0
		.amdhsa_wavefront_size32 1
		.amdhsa_uses_dynamic_stack 0
		.amdhsa_enable_private_segment 0
		.amdhsa_system_sgpr_workgroup_id_x 1
		.amdhsa_system_sgpr_workgroup_id_y 0
		.amdhsa_system_sgpr_workgroup_id_z 1
		.amdhsa_system_sgpr_workgroup_info 0
		.amdhsa_system_vgpr_workitem_id 0
		.amdhsa_next_free_vgpr 12
		.amdhsa_next_free_sgpr 32
		.amdhsa_reserve_vcc 1
		.amdhsa_float_round_mode_32 0
		.amdhsa_float_round_mode_16_64 0
		.amdhsa_float_denorm_mode_32 3
		.amdhsa_float_denorm_mode_16_64 3
		.amdhsa_dx10_clamp 1
		.amdhsa_ieee_mode 1
		.amdhsa_fp16_overflow 0
		.amdhsa_workgroup_processor_mode 1
		.amdhsa_memory_ordered 1
		.amdhsa_forward_progress 0
		.amdhsa_shared_vgpr_count 0
		.amdhsa_exception_fp_ieee_invalid_op 0
		.amdhsa_exception_fp_denorm_src 0
		.amdhsa_exception_fp_ieee_div_zero 0
		.amdhsa_exception_fp_ieee_overflow 0
		.amdhsa_exception_fp_ieee_underflow 0
		.amdhsa_exception_fp_ieee_inexact 0
		.amdhsa_exception_int_div_zero 0
	.end_amdhsa_kernel
	.section	.text._ZL18rocblas_rot_kernelIiLi512EfP16rocblas_bfloat16S1_PKS0_S3_EviT2_lllT3_lllT4_lT5_li,"axG",@progbits,_ZL18rocblas_rot_kernelIiLi512EfP16rocblas_bfloat16S1_PKS0_S3_EviT2_lllT3_lllT4_lT5_li,comdat
.Lfunc_end4:
	.size	_ZL18rocblas_rot_kernelIiLi512EfP16rocblas_bfloat16S1_PKS0_S3_EviT2_lllT3_lllT4_lT5_li, .Lfunc_end4-_ZL18rocblas_rot_kernelIiLi512EfP16rocblas_bfloat16S1_PKS0_S3_EviT2_lllT3_lllT4_lT5_li
                                        ; -- End function
	.section	.AMDGPU.csdata,"",@progbits
; Kernel info:
; codeLenInByte = 1036
; NumSgprs: 34
; NumVgprs: 12
; ScratchSize: 0
; MemoryBound: 0
; FloatMode: 240
; IeeeMode: 1
; LDSByteSize: 0 bytes/workgroup (compile time only)
; SGPRBlocks: 4
; VGPRBlocks: 1
; NumSGPRsForWavesPerEU: 34
; NumVGPRsForWavesPerEU: 12
; Occupancy: 16
; WaveLimiterHint : 0
; COMPUTE_PGM_RSRC2:SCRATCH_EN: 0
; COMPUTE_PGM_RSRC2:USER_SGPR: 14
; COMPUTE_PGM_RSRC2:TRAP_HANDLER: 0
; COMPUTE_PGM_RSRC2:TGID_X_EN: 1
; COMPUTE_PGM_RSRC2:TGID_Y_EN: 0
; COMPUTE_PGM_RSRC2:TGID_Z_EN: 1
; COMPUTE_PGM_RSRC2:TIDIG_COMP_CNT: 0
	.section	.text._ZL18rocblas_rot_kernelIiLi512EfP16rocblas_bfloat16S1_S0_S0_EviT2_lllT3_lllT4_lT5_li,"axG",@progbits,_ZL18rocblas_rot_kernelIiLi512EfP16rocblas_bfloat16S1_S0_S0_EviT2_lllT3_lllT4_lT5_li,comdat
	.globl	_ZL18rocblas_rot_kernelIiLi512EfP16rocblas_bfloat16S1_S0_S0_EviT2_lllT3_lllT4_lT5_li ; -- Begin function _ZL18rocblas_rot_kernelIiLi512EfP16rocblas_bfloat16S1_S0_S0_EviT2_lllT3_lllT4_lT5_li
	.p2align	8
	.type	_ZL18rocblas_rot_kernelIiLi512EfP16rocblas_bfloat16S1_S0_S0_EviT2_lllT3_lllT4_lT5_li,@function
_ZL18rocblas_rot_kernelIiLi512EfP16rocblas_bfloat16S1_S0_S0_EviT2_lllT3_lllT4_lT5_li: ; @_ZL18rocblas_rot_kernelIiLi512EfP16rocblas_bfloat16S1_S0_S0_EviT2_lllT3_lllT4_lT5_li
; %bb.0:
	s_clause 0x1
	s_load_b32 s3, s[0:1], 0x7c
	s_load_b32 s2, s[0:1], 0x0
	s_waitcnt lgkmcnt(0)
	s_and_b32 s3, s3, 0xffff
	s_delay_alu instid0(SALU_CYCLE_1)
	v_mad_u64_u32 v[2:3], null, s14, s3, v[0:1]
	v_mov_b32_e32 v3, 0
	s_ashr_i32 s3, s2, 31
	s_delay_alu instid0(VALU_DEP_1) | instid1(SALU_CYCLE_1)
	v_cmp_gt_i64_e32 vcc_lo, s[2:3], v[2:3]
	s_and_saveexec_b32 s2, vcc_lo
	s_cbranch_execz .LBB5_26
; %bb.1:
	s_load_b512 s[16:31], s[0:1], 0x8
	s_waitcnt lgkmcnt(0)
	v_mad_u64_u32 v[0:1], null, v2, s20, 0
	s_mul_i32 s3, s15, s23
	s_mul_hi_u32 s4, s15, s22
	s_mul_i32 s2, s15, s22
	s_add_i32 s3, s4, s3
	s_delay_alu instid0(SALU_CYCLE_1) | instskip(NEXT) | instid1(VALU_DEP_1)
	s_lshl_b64 s[2:3], s[2:3], 1
	v_mad_u64_u32 v[3:4], null, v2, s21, v[1:2]
	s_add_u32 s4, s16, s2
	s_addc_u32 s5, s17, s3
	s_lshl_b64 s[2:3], s[18:19], 1
	s_delay_alu instid0(SALU_CYCLE_1) | instskip(SKIP_1) | instid1(VALU_DEP_1)
	s_add_u32 s2, s4, s2
	s_addc_u32 s3, s5, s3
	v_mov_b32_e32 v1, v3
	s_delay_alu instid0(VALU_DEP_1) | instskip(NEXT) | instid1(VALU_DEP_1)
	v_lshlrev_b64 v[0:1], 1, v[0:1]
	v_add_co_u32 v0, vcc_lo, s2, v0
	s_delay_alu instid0(VALU_DEP_2)
	v_add_co_ci_u32_e32 v1, vcc_lo, s3, v1, vcc_lo
	s_load_b32 s2, s[0:1], 0x48
	global_load_u16 v3, v[0:1], off
	s_waitcnt lgkmcnt(0)
	s_lshl_b32 s2, s2, 16
	s_waitcnt vmcnt(0)
	v_lshlrev_b32_e32 v5, 16, v3
	s_delay_alu instid0(VALU_DEP_1) | instskip(NEXT) | instid1(VALU_DEP_1)
	v_mul_f32_e32 v3, s2, v5
	v_and_b32_e32 v4, 0x7f800000, v3
	s_delay_alu instid0(VALU_DEP_1) | instskip(SKIP_1) | instid1(SALU_CYCLE_1)
	v_cmp_ne_u32_e32 vcc_lo, 0x7f800000, v4
                                        ; implicit-def: $vgpr4
	s_and_saveexec_b32 s3, vcc_lo
	s_xor_b32 s3, exec_lo, s3
; %bb.2:
	v_bfe_u32 v4, v3, 16, 1
	s_delay_alu instid0(VALU_DEP_1)
	v_add3_u32 v4, v3, v4, 0x7fff
                                        ; implicit-def: $vgpr3
; %bb.3:
	s_and_not1_saveexec_b32 s3, s3
; %bb.4:
	v_and_b32_e32 v4, 0xffff, v3
	v_or_b32_e32 v6, 0x10000, v3
	s_delay_alu instid0(VALU_DEP_2) | instskip(NEXT) | instid1(VALU_DEP_2)
	v_cmp_eq_u32_e32 vcc_lo, 0, v4
	v_cndmask_b32_e32 v4, v6, v3, vcc_lo
; %bb.5:
	s_or_b32 exec_lo, exec_lo, s3
	s_load_b32 s0, s[0:1], 0x58
	s_mul_i32 s3, s15, s31
	s_mul_hi_u32 s5, s15, s30
	v_mad_u64_u32 v[6:7], null, v2, s28, 0
	s_mul_i32 s4, s15, s30
	s_add_i32 s5, s5, s3
	s_delay_alu instid0(SALU_CYCLE_1) | instskip(NEXT) | instid1(SALU_CYCLE_1)
	s_lshl_b64 s[4:5], s[4:5], 1
	s_add_u32 s3, s24, s4
	s_addc_u32 s6, s25, s5
	s_lshl_b64 s[4:5], s[26:27], 1
	s_delay_alu instid0(SALU_CYCLE_1) | instskip(SKIP_4) | instid1(VALU_DEP_1)
	s_add_u32 s3, s3, s4
	s_addc_u32 s4, s6, s5
	s_waitcnt lgkmcnt(0)
	s_lshl_b32 s0, s0, 16
	v_mov_b32_e32 v3, v7
	v_mad_u64_u32 v[7:8], null, v2, s29, v[3:4]
	s_delay_alu instid0(VALU_DEP_1) | instskip(NEXT) | instid1(VALU_DEP_1)
	v_lshlrev_b64 v[2:3], 1, v[6:7]
	v_add_co_u32 v2, vcc_lo, s3, v2
	s_delay_alu instid0(VALU_DEP_2) | instskip(SKIP_3) | instid1(VALU_DEP_1)
	v_add_co_ci_u32_e32 v3, vcc_lo, s4, v3, vcc_lo
	global_load_u16 v6, v[2:3], off
	s_waitcnt vmcnt(0)
	v_lshlrev_b32_e32 v7, 16, v6
	v_mul_f32_e32 v8, s0, v7
	s_delay_alu instid0(VALU_DEP_1) | instskip(NEXT) | instid1(VALU_DEP_1)
	v_and_b32_e32 v6, 0x7f800000, v8
	v_cmp_ne_u32_e32 vcc_lo, 0x7f800000, v6
                                        ; implicit-def: $vgpr6
	s_and_saveexec_b32 s1, vcc_lo
	s_delay_alu instid0(SALU_CYCLE_1)
	s_xor_b32 s1, exec_lo, s1
; %bb.6:
	v_bfe_u32 v6, v8, 16, 1
	s_delay_alu instid0(VALU_DEP_1)
	v_add3_u32 v6, v8, v6, 0x7fff
                                        ; implicit-def: $vgpr8
; %bb.7:
	s_and_not1_saveexec_b32 s1, s1
; %bb.8:
	v_and_b32_e32 v6, 0xffff, v8
	v_or_b32_e32 v9, 0x10000, v8
	s_delay_alu instid0(VALU_DEP_2) | instskip(NEXT) | instid1(VALU_DEP_2)
	v_cmp_eq_u32_e32 vcc_lo, 0, v6
	v_cndmask_b32_e32 v6, v9, v8, vcc_lo
; %bb.9:
	s_or_b32 exec_lo, exec_lo, s1
	v_mul_f32_e32 v8, s2, v7
	s_delay_alu instid0(VALU_DEP_1) | instskip(NEXT) | instid1(VALU_DEP_1)
	v_and_b32_e32 v7, 0x7f800000, v8
	v_cmp_ne_u32_e32 vcc_lo, 0x7f800000, v7
                                        ; implicit-def: $vgpr7
	s_and_saveexec_b32 s1, vcc_lo
	s_delay_alu instid0(SALU_CYCLE_1)
	s_xor_b32 s1, exec_lo, s1
; %bb.10:
	v_bfe_u32 v7, v8, 16, 1
	s_delay_alu instid0(VALU_DEP_1)
	v_add3_u32 v7, v8, v7, 0x7fff
                                        ; implicit-def: $vgpr8
; %bb.11:
	s_and_not1_saveexec_b32 s1, s1
; %bb.12:
	v_and_b32_e32 v7, 0xffff, v8
	v_or_b32_e32 v9, 0x10000, v8
	s_delay_alu instid0(VALU_DEP_2) | instskip(NEXT) | instid1(VALU_DEP_2)
	v_cmp_eq_u32_e32 vcc_lo, 0, v7
	v_cndmask_b32_e32 v7, v9, v8, vcc_lo
; %bb.13:
	s_or_b32 exec_lo, exec_lo, s1
	v_mul_f32_e32 v5, s0, v5
	s_delay_alu instid0(VALU_DEP_1) | instskip(NEXT) | instid1(VALU_DEP_1)
	v_and_b32_e32 v8, 0x7f800000, v5
	v_cmp_ne_u32_e32 vcc_lo, 0x7f800000, v8
                                        ; implicit-def: $vgpr8
	s_and_saveexec_b32 s0, vcc_lo
	s_delay_alu instid0(SALU_CYCLE_1)
	s_xor_b32 s0, exec_lo, s0
; %bb.14:
	v_bfe_u32 v8, v5, 16, 1
	s_delay_alu instid0(VALU_DEP_1)
	v_add3_u32 v8, v5, v8, 0x7fff
                                        ; implicit-def: $vgpr5
; %bb.15:
	s_and_not1_saveexec_b32 s0, s0
; %bb.16:
	v_and_b32_e32 v8, 0xffff, v5
	v_or_b32_e32 v9, 0x10000, v5
	s_delay_alu instid0(VALU_DEP_2) | instskip(NEXT) | instid1(VALU_DEP_2)
	v_cmp_eq_u32_e32 vcc_lo, 0, v8
	v_cndmask_b32_e32 v8, v9, v5, vcc_lo
; %bb.17:
	s_or_b32 exec_lo, exec_lo, s0
	v_and_b32_e32 v5, 0xffff0000, v7
	s_delay_alu instid0(VALU_DEP_2) | instskip(NEXT) | instid1(VALU_DEP_1)
	v_and_b32_e32 v7, 0xffff0000, v8
	v_sub_f32_e32 v7, v5, v7
	s_delay_alu instid0(VALU_DEP_1) | instskip(NEXT) | instid1(VALU_DEP_1)
	v_and_b32_e32 v5, 0x7f800000, v7
	v_cmp_ne_u32_e32 vcc_lo, 0x7f800000, v5
                                        ; implicit-def: $vgpr5
	s_and_saveexec_b32 s0, vcc_lo
	s_delay_alu instid0(SALU_CYCLE_1)
	s_xor_b32 s0, exec_lo, s0
; %bb.18:
	v_bfe_u32 v5, v7, 16, 1
	s_delay_alu instid0(VALU_DEP_1)
	v_add3_u32 v5, v7, v5, 0x7fff
                                        ; implicit-def: $vgpr7
; %bb.19:
	s_and_not1_saveexec_b32 s0, s0
; %bb.20:
	v_and_b32_e32 v5, 0xffff, v7
	v_or_b32_e32 v8, 0x10000, v7
	s_delay_alu instid0(VALU_DEP_2) | instskip(NEXT) | instid1(VALU_DEP_2)
	v_cmp_eq_u32_e32 vcc_lo, 0, v5
	v_cndmask_b32_e32 v5, v8, v7, vcc_lo
; %bb.21:
	s_or_b32 exec_lo, exec_lo, s0
	v_and_b32_e32 v4, 0xffff0000, v4
	v_and_b32_e32 v6, 0xffff0000, v6
	s_mov_b32 s0, exec_lo
	global_store_d16_hi_b16 v[2:3], v5, off
                                        ; implicit-def: $vgpr2
	v_add_f32_e32 v4, v4, v6
	s_delay_alu instid0(VALU_DEP_1) | instskip(NEXT) | instid1(VALU_DEP_1)
	v_and_b32_e32 v6, 0x7f800000, v4
	v_cmpx_ne_u32_e32 0x7f800000, v6
	s_xor_b32 s0, exec_lo, s0
; %bb.22:
	v_bfe_u32 v2, v4, 16, 1
	s_delay_alu instid0(VALU_DEP_1)
	v_add3_u32 v2, v4, v2, 0x7fff
                                        ; implicit-def: $vgpr4
; %bb.23:
	s_and_not1_saveexec_b32 s0, s0
; %bb.24:
	v_and_b32_e32 v2, 0xffff, v4
	v_or_b32_e32 v3, 0x10000, v4
	s_delay_alu instid0(VALU_DEP_2) | instskip(NEXT) | instid1(VALU_DEP_2)
	v_cmp_eq_u32_e32 vcc_lo, 0, v2
	v_cndmask_b32_e32 v2, v3, v4, vcc_lo
; %bb.25:
	s_or_b32 exec_lo, exec_lo, s0
	global_store_d16_hi_b16 v[0:1], v2, off
.LBB5_26:
	s_nop 0
	s_sendmsg sendmsg(MSG_DEALLOC_VGPRS)
	s_endpgm
	.section	.rodata,"a",@progbits
	.p2align	6, 0x0
	.amdhsa_kernel _ZL18rocblas_rot_kernelIiLi512EfP16rocblas_bfloat16S1_S0_S0_EviT2_lllT3_lllT4_lT5_li
		.amdhsa_group_segment_fixed_size 0
		.amdhsa_private_segment_fixed_size 0
		.amdhsa_kernarg_size 368
		.amdhsa_user_sgpr_count 14
		.amdhsa_user_sgpr_dispatch_ptr 0
		.amdhsa_user_sgpr_queue_ptr 0
		.amdhsa_user_sgpr_kernarg_segment_ptr 1
		.amdhsa_user_sgpr_dispatch_id 0
		.amdhsa_user_sgpr_private_segment_size 0
		.amdhsa_wavefront_size32 1
		.amdhsa_uses_dynamic_stack 0
		.amdhsa_enable_private_segment 0
		.amdhsa_system_sgpr_workgroup_id_x 1
		.amdhsa_system_sgpr_workgroup_id_y 0
		.amdhsa_system_sgpr_workgroup_id_z 1
		.amdhsa_system_sgpr_workgroup_info 0
		.amdhsa_system_vgpr_workitem_id 0
		.amdhsa_next_free_vgpr 10
		.amdhsa_next_free_sgpr 32
		.amdhsa_reserve_vcc 1
		.amdhsa_float_round_mode_32 0
		.amdhsa_float_round_mode_16_64 0
		.amdhsa_float_denorm_mode_32 3
		.amdhsa_float_denorm_mode_16_64 3
		.amdhsa_dx10_clamp 1
		.amdhsa_ieee_mode 1
		.amdhsa_fp16_overflow 0
		.amdhsa_workgroup_processor_mode 1
		.amdhsa_memory_ordered 1
		.amdhsa_forward_progress 0
		.amdhsa_shared_vgpr_count 0
		.amdhsa_exception_fp_ieee_invalid_op 0
		.amdhsa_exception_fp_denorm_src 0
		.amdhsa_exception_fp_ieee_div_zero 0
		.amdhsa_exception_fp_ieee_overflow 0
		.amdhsa_exception_fp_ieee_underflow 0
		.amdhsa_exception_fp_ieee_inexact 0
		.amdhsa_exception_int_div_zero 0
	.end_amdhsa_kernel
	.section	.text._ZL18rocblas_rot_kernelIiLi512EfP16rocblas_bfloat16S1_S0_S0_EviT2_lllT3_lllT4_lT5_li,"axG",@progbits,_ZL18rocblas_rot_kernelIiLi512EfP16rocblas_bfloat16S1_S0_S0_EviT2_lllT3_lllT4_lT5_li,comdat
.Lfunc_end5:
	.size	_ZL18rocblas_rot_kernelIiLi512EfP16rocblas_bfloat16S1_S0_S0_EviT2_lllT3_lllT4_lT5_li, .Lfunc_end5-_ZL18rocblas_rot_kernelIiLi512EfP16rocblas_bfloat16S1_S0_S0_EviT2_lllT3_lllT4_lT5_li
                                        ; -- End function
	.section	.AMDGPU.csdata,"",@progbits
; Kernel info:
; codeLenInByte = 972
; NumSgprs: 34
; NumVgprs: 10
; ScratchSize: 0
; MemoryBound: 0
; FloatMode: 240
; IeeeMode: 1
; LDSByteSize: 0 bytes/workgroup (compile time only)
; SGPRBlocks: 4
; VGPRBlocks: 1
; NumSGPRsForWavesPerEU: 34
; NumVGPRsForWavesPerEU: 10
; Occupancy: 16
; WaveLimiterHint : 0
; COMPUTE_PGM_RSRC2:SCRATCH_EN: 0
; COMPUTE_PGM_RSRC2:USER_SGPR: 14
; COMPUTE_PGM_RSRC2:TRAP_HANDLER: 0
; COMPUTE_PGM_RSRC2:TGID_X_EN: 1
; COMPUTE_PGM_RSRC2:TGID_Y_EN: 0
; COMPUTE_PGM_RSRC2:TGID_Z_EN: 1
; COMPUTE_PGM_RSRC2:TIDIG_COMP_CNT: 0
	.section	.text._ZL18rocblas_rot_kernelIiLi512EfPDF16_S0_PKDF16_S2_EviT2_lllT3_lllT4_lT5_li,"axG",@progbits,_ZL18rocblas_rot_kernelIiLi512EfPDF16_S0_PKDF16_S2_EviT2_lllT3_lllT4_lT5_li,comdat
	.globl	_ZL18rocblas_rot_kernelIiLi512EfPDF16_S0_PKDF16_S2_EviT2_lllT3_lllT4_lT5_li ; -- Begin function _ZL18rocblas_rot_kernelIiLi512EfPDF16_S0_PKDF16_S2_EviT2_lllT3_lllT4_lT5_li
	.p2align	8
	.type	_ZL18rocblas_rot_kernelIiLi512EfPDF16_S0_PKDF16_S2_EviT2_lllT3_lllT4_lT5_li,@function
_ZL18rocblas_rot_kernelIiLi512EfPDF16_S0_PKDF16_S2_EviT2_lllT3_lllT4_lT5_li: ; @_ZL18rocblas_rot_kernelIiLi512EfPDF16_S0_PKDF16_S2_EviT2_lllT3_lllT4_lT5_li
; %bb.0:
	s_clause 0x1
	s_load_b32 s3, s[0:1], 0x7c
	s_load_b32 s2, s[0:1], 0x0
	s_waitcnt lgkmcnt(0)
	s_and_b32 s3, s3, 0xffff
	s_delay_alu instid0(SALU_CYCLE_1)
	v_mad_u64_u32 v[1:2], null, s14, s3, v[0:1]
	v_mov_b32_e32 v2, 0
	s_ashr_i32 s3, s2, 31
	s_delay_alu instid0(VALU_DEP_1) | instid1(SALU_CYCLE_1)
	v_cmp_gt_i64_e32 vcc_lo, s[2:3], v[1:2]
	s_and_saveexec_b32 s2, vcc_lo
	s_cbranch_execz .LBB6_2
; %bb.1:
	s_clause 0x1
	s_load_b512 s[16:31], s[0:1], 0x8
	s_load_b256 s[0:7], s[0:1], 0x48
	s_waitcnt lgkmcnt(0)
	v_mad_u64_u32 v[3:4], null, v1, s20, 0
	v_mad_u64_u32 v[5:6], null, v1, s28, 0
	s_mul_i32 s9, s15, s31
	s_mul_hi_u32 s11, s15, s30
	s_mul_i32 s8, s15, s30
	s_add_i32 s9, s11, s9
	s_delay_alu instid0(VALU_DEP_2) | instskip(SKIP_1) | instid1(VALU_DEP_2)
	v_mov_b32_e32 v0, v4
	s_lshl_b64 s[8:9], s[8:9], 1
	v_mov_b32_e32 v4, v6
	s_add_u32 s11, s24, s8
	s_addc_u32 s20, s25, s9
	v_mad_u64_u32 v[6:7], null, v1, s21, v[0:1]
	s_delay_alu instid0(VALU_DEP_2) | instskip(SKIP_4) | instid1(VALU_DEP_2)
	v_mad_u64_u32 v[7:8], null, v1, s29, v[4:5]
	s_lshl_b64 s[8:9], s[26:27], 1
	s_mul_i32 s12, s15, s23
	s_mul_hi_u32 s13, s15, s22
	s_mul_i32 s10, s15, s22
	v_mov_b32_e32 v4, v6
	s_add_u32 s22, s11, s8
	s_addc_u32 s20, s20, s9
	s_add_i32 s11, s13, s12
	v_mov_b32_e32 v6, v7
	s_lshl_b64 s[8:9], s[10:11], 1
	v_lshlrev_b64 v[0:1], 1, v[3:4]
	s_add_u32 s10, s16, s8
	s_addc_u32 s11, s17, s9
	s_lshl_b64 s[8:9], s[18:19], 1
	v_lshlrev_b64 v[3:4], 1, v[5:6]
	s_mul_i32 s7, s15, s7
	s_mul_hi_u32 s14, s15, s6
	s_add_u32 s8, s10, s8
	s_mul_i32 s6, s15, s6
	s_addc_u32 s9, s11, s9
	s_add_i32 s7, s14, s7
	v_add_co_u32 v0, vcc_lo, s8, v0
	s_lshl_b64 s[6:7], s[6:7], 1
	v_add_co_ci_u32_e32 v1, vcc_lo, s9, v1, vcc_lo
	s_mul_i32 s3, s15, s3
	s_mul_hi_u32 s10, s15, s2
	v_add_co_u32 v3, vcc_lo, s22, v3
	s_add_u32 s4, s4, s6
	s_mul_i32 s2, s15, s2
	s_addc_u32 s5, s5, s7
	v_add_co_ci_u32_e32 v4, vcc_lo, s20, v4, vcc_lo
	s_add_i32 s3, s10, s3
	global_load_u16 v5, v[0:1], off
	global_load_u16 v6, v2, s[4:5]
	global_load_u16 v7, v[3:4], off
	s_lshl_b64 s[2:3], s[2:3], 1
	s_delay_alu instid0(SALU_CYCLE_1)
	s_add_u32 s0, s0, s2
	s_addc_u32 s1, s1, s3
	global_load_u16 v2, v2, s[0:1]
	s_waitcnt vmcnt(2)
	v_mul_f16_e32 v8, v6, v5
	s_waitcnt vmcnt(1)
	v_mul_f16_e32 v6, v6, v7
	s_waitcnt vmcnt(0)
	s_delay_alu instid0(VALU_DEP_2) | instskip(NEXT) | instid1(VALU_DEP_2)
	v_fma_f16 v7, v2, v7, -v8
	v_fmac_f16_e32 v6, v2, v5
	global_store_b16 v[3:4], v7, off
	global_store_b16 v[0:1], v6, off
.LBB6_2:
	s_nop 0
	s_sendmsg sendmsg(MSG_DEALLOC_VGPRS)
	s_endpgm
	.section	.rodata,"a",@progbits
	.p2align	6, 0x0
	.amdhsa_kernel _ZL18rocblas_rot_kernelIiLi512EfPDF16_S0_PKDF16_S2_EviT2_lllT3_lllT4_lT5_li
		.amdhsa_group_segment_fixed_size 0
		.amdhsa_private_segment_fixed_size 0
		.amdhsa_kernarg_size 368
		.amdhsa_user_sgpr_count 14
		.amdhsa_user_sgpr_dispatch_ptr 0
		.amdhsa_user_sgpr_queue_ptr 0
		.amdhsa_user_sgpr_kernarg_segment_ptr 1
		.amdhsa_user_sgpr_dispatch_id 0
		.amdhsa_user_sgpr_private_segment_size 0
		.amdhsa_wavefront_size32 1
		.amdhsa_uses_dynamic_stack 0
		.amdhsa_enable_private_segment 0
		.amdhsa_system_sgpr_workgroup_id_x 1
		.amdhsa_system_sgpr_workgroup_id_y 0
		.amdhsa_system_sgpr_workgroup_id_z 1
		.amdhsa_system_sgpr_workgroup_info 0
		.amdhsa_system_vgpr_workitem_id 0
		.amdhsa_next_free_vgpr 9
		.amdhsa_next_free_sgpr 32
		.amdhsa_reserve_vcc 1
		.amdhsa_float_round_mode_32 0
		.amdhsa_float_round_mode_16_64 0
		.amdhsa_float_denorm_mode_32 3
		.amdhsa_float_denorm_mode_16_64 3
		.amdhsa_dx10_clamp 1
		.amdhsa_ieee_mode 1
		.amdhsa_fp16_overflow 0
		.amdhsa_workgroup_processor_mode 1
		.amdhsa_memory_ordered 1
		.amdhsa_forward_progress 0
		.amdhsa_shared_vgpr_count 0
		.amdhsa_exception_fp_ieee_invalid_op 0
		.amdhsa_exception_fp_denorm_src 0
		.amdhsa_exception_fp_ieee_div_zero 0
		.amdhsa_exception_fp_ieee_overflow 0
		.amdhsa_exception_fp_ieee_underflow 0
		.amdhsa_exception_fp_ieee_inexact 0
		.amdhsa_exception_int_div_zero 0
	.end_amdhsa_kernel
	.section	.text._ZL18rocblas_rot_kernelIiLi512EfPDF16_S0_PKDF16_S2_EviT2_lllT3_lllT4_lT5_li,"axG",@progbits,_ZL18rocblas_rot_kernelIiLi512EfPDF16_S0_PKDF16_S2_EviT2_lllT3_lllT4_lT5_li,comdat
.Lfunc_end6:
	.size	_ZL18rocblas_rot_kernelIiLi512EfPDF16_S0_PKDF16_S2_EviT2_lllT3_lllT4_lT5_li, .Lfunc_end6-_ZL18rocblas_rot_kernelIiLi512EfPDF16_S0_PKDF16_S2_EviT2_lllT3_lllT4_lT5_li
                                        ; -- End function
	.section	.AMDGPU.csdata,"",@progbits
; Kernel info:
; codeLenInByte = 424
; NumSgprs: 34
; NumVgprs: 9
; ScratchSize: 0
; MemoryBound: 0
; FloatMode: 240
; IeeeMode: 1
; LDSByteSize: 0 bytes/workgroup (compile time only)
; SGPRBlocks: 4
; VGPRBlocks: 1
; NumSGPRsForWavesPerEU: 34
; NumVGPRsForWavesPerEU: 9
; Occupancy: 16
; WaveLimiterHint : 0
; COMPUTE_PGM_RSRC2:SCRATCH_EN: 0
; COMPUTE_PGM_RSRC2:USER_SGPR: 14
; COMPUTE_PGM_RSRC2:TRAP_HANDLER: 0
; COMPUTE_PGM_RSRC2:TGID_X_EN: 1
; COMPUTE_PGM_RSRC2:TGID_Y_EN: 0
; COMPUTE_PGM_RSRC2:TGID_Z_EN: 1
; COMPUTE_PGM_RSRC2:TIDIG_COMP_CNT: 0
	.section	.text._ZL18rocblas_rot_kernelIiLi512EfPDF16_S0_DF16_DF16_EviT2_lllT3_lllT4_lT5_li,"axG",@progbits,_ZL18rocblas_rot_kernelIiLi512EfPDF16_S0_DF16_DF16_EviT2_lllT3_lllT4_lT5_li,comdat
	.globl	_ZL18rocblas_rot_kernelIiLi512EfPDF16_S0_DF16_DF16_EviT2_lllT3_lllT4_lT5_li ; -- Begin function _ZL18rocblas_rot_kernelIiLi512EfPDF16_S0_DF16_DF16_EviT2_lllT3_lllT4_lT5_li
	.p2align	8
	.type	_ZL18rocblas_rot_kernelIiLi512EfPDF16_S0_DF16_DF16_EviT2_lllT3_lllT4_lT5_li,@function
_ZL18rocblas_rot_kernelIiLi512EfPDF16_S0_DF16_DF16_EviT2_lllT3_lllT4_lT5_li: ; @_ZL18rocblas_rot_kernelIiLi512EfPDF16_S0_DF16_DF16_EviT2_lllT3_lllT4_lT5_li
; %bb.0:
	s_clause 0x1
	s_load_b32 s3, s[0:1], 0x7c
	s_load_b32 s2, s[0:1], 0x0
	s_waitcnt lgkmcnt(0)
	s_and_b32 s3, s3, 0xffff
	s_delay_alu instid0(SALU_CYCLE_1)
	v_mad_u64_u32 v[1:2], null, s14, s3, v[0:1]
	v_mov_b32_e32 v2, 0
	s_ashr_i32 s3, s2, 31
	s_delay_alu instid0(VALU_DEP_1) | instid1(SALU_CYCLE_1)
	v_cmp_gt_i64_e32 vcc_lo, s[2:3], v[1:2]
	s_and_saveexec_b32 s2, vcc_lo
	s_cbranch_execz .LBB7_2
; %bb.1:
	s_load_b512 s[16:31], s[0:1], 0x8
	s_waitcnt lgkmcnt(0)
	v_mad_u64_u32 v[2:3], null, v1, s20, 0
	v_mad_u64_u32 v[4:5], null, v1, s28, 0
	s_mul_i32 s3, s15, s31
	s_mul_hi_u32 s4, s15, s30
	s_mul_i32 s2, s15, s30
	s_add_i32 s3, s4, s3
	s_delay_alu instid0(VALU_DEP_2) | instskip(SKIP_1) | instid1(VALU_DEP_2)
	v_mov_b32_e32 v0, v3
	s_lshl_b64 s[2:3], s[2:3], 1
	v_mov_b32_e32 v3, v5
	s_add_u32 s7, s24, s2
	s_addc_u32 s8, s25, s3
	v_mad_u64_u32 v[5:6], null, v1, s21, v[0:1]
	s_delay_alu instid0(VALU_DEP_2) | instskip(SKIP_4) | instid1(VALU_DEP_2)
	v_mad_u64_u32 v[6:7], null, v1, s29, v[3:4]
	s_lshl_b64 s[2:3], s[26:27], 1
	s_mul_i32 s5, s15, s23
	s_mul_hi_u32 s6, s15, s22
	s_add_u32 s7, s7, s2
	v_mov_b32_e32 v3, v5
	s_mul_i32 s4, s15, s22
	s_addc_u32 s8, s8, s3
	s_add_i32 s5, s6, s5
	v_mov_b32_e32 v5, v6
	s_lshl_b64 s[2:3], s[4:5], 1
	v_lshlrev_b64 v[0:1], 1, v[2:3]
	s_add_u32 s4, s16, s2
	s_addc_u32 s5, s17, s3
	s_lshl_b64 s[2:3], s[18:19], 1
	v_lshlrev_b64 v[2:3], 1, v[4:5]
	s_add_u32 s2, s4, s2
	s_addc_u32 s3, s5, s3
	v_add_co_u32 v0, vcc_lo, s2, v0
	v_add_co_ci_u32_e32 v1, vcc_lo, s3, v1, vcc_lo
	s_delay_alu instid0(VALU_DEP_3)
	v_add_co_u32 v2, vcc_lo, s7, v2
	v_add_co_ci_u32_e32 v3, vcc_lo, s8, v3, vcc_lo
	global_load_u16 v4, v[0:1], off
	global_load_u16 v5, v[2:3], off
	s_clause 0x1
	s_load_b32 s2, s[0:1], 0x58
	s_load_b32 s0, s[0:1], 0x48
	s_waitcnt vmcnt(1) lgkmcnt(0)
	v_mul_f16_e32 v6, s2, v4
	s_waitcnt vmcnt(0)
	v_mul_f16_e32 v7, s2, v5
	s_delay_alu instid0(VALU_DEP_2) | instskip(NEXT) | instid1(VALU_DEP_2)
	v_fma_f16 v5, v5, s0, -v6
	v_fmac_f16_e32 v7, s0, v4
	global_store_b16 v[2:3], v5, off
	global_store_b16 v[0:1], v7, off
.LBB7_2:
	s_nop 0
	s_sendmsg sendmsg(MSG_DEALLOC_VGPRS)
	s_endpgm
	.section	.rodata,"a",@progbits
	.p2align	6, 0x0
	.amdhsa_kernel _ZL18rocblas_rot_kernelIiLi512EfPDF16_S0_DF16_DF16_EviT2_lllT3_lllT4_lT5_li
		.amdhsa_group_segment_fixed_size 0
		.amdhsa_private_segment_fixed_size 0
		.amdhsa_kernarg_size 368
		.amdhsa_user_sgpr_count 14
		.amdhsa_user_sgpr_dispatch_ptr 0
		.amdhsa_user_sgpr_queue_ptr 0
		.amdhsa_user_sgpr_kernarg_segment_ptr 1
		.amdhsa_user_sgpr_dispatch_id 0
		.amdhsa_user_sgpr_private_segment_size 0
		.amdhsa_wavefront_size32 1
		.amdhsa_uses_dynamic_stack 0
		.amdhsa_enable_private_segment 0
		.amdhsa_system_sgpr_workgroup_id_x 1
		.amdhsa_system_sgpr_workgroup_id_y 0
		.amdhsa_system_sgpr_workgroup_id_z 1
		.amdhsa_system_sgpr_workgroup_info 0
		.amdhsa_system_vgpr_workitem_id 0
		.amdhsa_next_free_vgpr 8
		.amdhsa_next_free_sgpr 32
		.amdhsa_reserve_vcc 1
		.amdhsa_float_round_mode_32 0
		.amdhsa_float_round_mode_16_64 0
		.amdhsa_float_denorm_mode_32 3
		.amdhsa_float_denorm_mode_16_64 3
		.amdhsa_dx10_clamp 1
		.amdhsa_ieee_mode 1
		.amdhsa_fp16_overflow 0
		.amdhsa_workgroup_processor_mode 1
		.amdhsa_memory_ordered 1
		.amdhsa_forward_progress 0
		.amdhsa_shared_vgpr_count 0
		.amdhsa_exception_fp_ieee_invalid_op 0
		.amdhsa_exception_fp_denorm_src 0
		.amdhsa_exception_fp_ieee_div_zero 0
		.amdhsa_exception_fp_ieee_overflow 0
		.amdhsa_exception_fp_ieee_underflow 0
		.amdhsa_exception_fp_ieee_inexact 0
		.amdhsa_exception_int_div_zero 0
	.end_amdhsa_kernel
	.section	.text._ZL18rocblas_rot_kernelIiLi512EfPDF16_S0_DF16_DF16_EviT2_lllT3_lllT4_lT5_li,"axG",@progbits,_ZL18rocblas_rot_kernelIiLi512EfPDF16_S0_DF16_DF16_EviT2_lllT3_lllT4_lT5_li,comdat
.Lfunc_end7:
	.size	_ZL18rocblas_rot_kernelIiLi512EfPDF16_S0_DF16_DF16_EviT2_lllT3_lllT4_lT5_li, .Lfunc_end7-_ZL18rocblas_rot_kernelIiLi512EfPDF16_S0_DF16_DF16_EviT2_lllT3_lllT4_lT5_li
                                        ; -- End function
	.section	.AMDGPU.csdata,"",@progbits
; Kernel info:
; codeLenInByte = 356
; NumSgprs: 34
; NumVgprs: 8
; ScratchSize: 0
; MemoryBound: 0
; FloatMode: 240
; IeeeMode: 1
; LDSByteSize: 0 bytes/workgroup (compile time only)
; SGPRBlocks: 4
; VGPRBlocks: 0
; NumSGPRsForWavesPerEU: 34
; NumVGPRsForWavesPerEU: 8
; Occupancy: 16
; WaveLimiterHint : 0
; COMPUTE_PGM_RSRC2:SCRATCH_EN: 0
; COMPUTE_PGM_RSRC2:USER_SGPR: 14
; COMPUTE_PGM_RSRC2:TRAP_HANDLER: 0
; COMPUTE_PGM_RSRC2:TGID_X_EN: 1
; COMPUTE_PGM_RSRC2:TGID_Y_EN: 0
; COMPUTE_PGM_RSRC2:TGID_Z_EN: 1
; COMPUTE_PGM_RSRC2:TIDIG_COMP_CNT: 0
	.section	.text._ZL18rocblas_rot_kernelIiLi512E19rocblas_complex_numIfEPS1_S2_PKfS4_EviT2_lllT3_lllT4_lT5_li,"axG",@progbits,_ZL18rocblas_rot_kernelIiLi512E19rocblas_complex_numIfEPS1_S2_PKfS4_EviT2_lllT3_lllT4_lT5_li,comdat
	.globl	_ZL18rocblas_rot_kernelIiLi512E19rocblas_complex_numIfEPS1_S2_PKfS4_EviT2_lllT3_lllT4_lT5_li ; -- Begin function _ZL18rocblas_rot_kernelIiLi512E19rocblas_complex_numIfEPS1_S2_PKfS4_EviT2_lllT3_lllT4_lT5_li
	.p2align	8
	.type	_ZL18rocblas_rot_kernelIiLi512E19rocblas_complex_numIfEPS1_S2_PKfS4_EviT2_lllT3_lllT4_lT5_li,@function
_ZL18rocblas_rot_kernelIiLi512E19rocblas_complex_numIfEPS1_S2_PKfS4_EviT2_lllT3_lllT4_lT5_li: ; @_ZL18rocblas_rot_kernelIiLi512E19rocblas_complex_numIfEPS1_S2_PKfS4_EviT2_lllT3_lllT4_lT5_li
; %bb.0:
	s_clause 0x1
	s_load_b32 s3, s[0:1], 0x7c
	s_load_b32 s2, s[0:1], 0x0
	s_waitcnt lgkmcnt(0)
	s_and_b32 s3, s3, 0xffff
	s_delay_alu instid0(SALU_CYCLE_1)
	v_mad_u64_u32 v[1:2], null, s14, s3, v[0:1]
	v_mov_b32_e32 v2, 0
	s_ashr_i32 s3, s2, 31
	s_delay_alu instid0(VALU_DEP_1) | instid1(SALU_CYCLE_1)
	v_cmp_gt_i64_e32 vcc_lo, s[2:3], v[1:2]
	s_and_saveexec_b32 s2, vcc_lo
	s_cbranch_execz .LBB8_2
; %bb.1:
	s_load_b512 s[16:31], s[0:1], 0x8
	s_waitcnt lgkmcnt(0)
	v_mad_u64_u32 v[2:3], null, v1, s28, 0
	v_mad_u64_u32 v[4:5], null, v1, s20, 0
	s_mul_i32 s3, s15, s31
	s_mul_hi_u32 s4, s15, s30
	s_mul_i32 s2, s15, s30
	s_add_i32 s3, s4, s3
	s_delay_alu instid0(VALU_DEP_2) | instskip(SKIP_1) | instid1(VALU_DEP_2)
	v_mov_b32_e32 v0, v3
	s_lshl_b64 s[2:3], s[2:3], 3
	v_mov_b32_e32 v3, v5
	s_add_u32 s7, s24, s2
	s_addc_u32 s8, s25, s3
	v_mad_u64_u32 v[5:6], null, v1, s29, v[0:1]
	s_delay_alu instid0(VALU_DEP_2) | instskip(SKIP_4) | instid1(VALU_DEP_2)
	v_mad_u64_u32 v[6:7], null, v1, s21, v[3:4]
	s_lshl_b64 s[2:3], s[26:27], 3
	s_mul_i32 s5, s15, s23
	s_mul_hi_u32 s6, s15, s22
	s_add_u32 s7, s7, s2
	v_mov_b32_e32 v3, v5
	s_mul_i32 s4, s15, s22
	s_delay_alu instid0(VALU_DEP_2)
	v_mov_b32_e32 v5, v6
	s_addc_u32 s8, s8, s3
	s_add_i32 s5, s6, s5
	v_lshlrev_b64 v[0:1], 3, v[2:3]
	s_lshl_b64 s[2:3], s[4:5], 3
	v_lshlrev_b64 v[2:3], 3, v[4:5]
	s_add_u32 s4, s16, s2
	s_addc_u32 s5, s17, s3
	s_lshl_b64 s[2:3], s[18:19], 3
	v_add_co_u32 v0, vcc_lo, s7, v0
	s_add_u32 s2, s4, s2
	v_add_co_ci_u32_e32 v1, vcc_lo, s8, v1, vcc_lo
	s_addc_u32 s3, s5, s3
	v_add_co_u32 v2, vcc_lo, s2, v2
	v_add_co_ci_u32_e32 v3, vcc_lo, s3, v3, vcc_lo
	global_load_b64 v[4:5], v[0:1], off
	global_load_b64 v[6:7], v[2:3], off
	s_load_b256 s[0:7], s[0:1], 0x48
	s_waitcnt lgkmcnt(0)
	s_mul_i32 s7, s15, s7
	s_mul_hi_u32 s8, s15, s6
	s_mul_i32 s6, s15, s6
	s_add_i32 s7, s8, s7
	s_mul_i32 s3, s15, s3
	s_lshl_b64 s[6:7], s[6:7], 2
	s_mul_hi_u32 s8, s15, s2
	s_add_u32 s4, s4, s6
	s_mul_i32 s2, s15, s2
	s_addc_u32 s5, s5, s7
	s_add_i32 s3, s8, s3
	s_load_b32 s4, s[4:5], 0x0
	s_lshl_b64 s[2:3], s[2:3], 2
	s_delay_alu instid0(SALU_CYCLE_1)
	s_add_u32 s0, s0, s2
	s_addc_u32 s1, s1, s3
	s_load_b32 s0, s[0:1], 0x0
	s_waitcnt vmcnt(1) lgkmcnt(0)
	v_mul_f32_e32 v8, s4, v4
	s_waitcnt vmcnt(0)
	v_dual_mul_f32 v10, s4, v6 :: v_dual_mul_f32 v11, s4, v7
	s_delay_alu instid0(VALU_DEP_2) | instskip(NEXT) | instid1(VALU_DEP_2)
	v_dual_mul_f32 v9, s4, v5 :: v_dual_fmac_f32 v8, s0, v6
	v_fma_f32 v4, s0, v4, -v10
	s_delay_alu instid0(VALU_DEP_3) | instskip(NEXT) | instid1(VALU_DEP_3)
	v_fma_f32 v5, s0, v5, -v11
	v_fmac_f32_e32 v9, s0, v7
	global_store_b64 v[0:1], v[4:5], off
	global_store_b64 v[2:3], v[8:9], off
.LBB8_2:
	s_nop 0
	s_sendmsg sendmsg(MSG_DEALLOC_VGPRS)
	s_endpgm
	.section	.rodata,"a",@progbits
	.p2align	6, 0x0
	.amdhsa_kernel _ZL18rocblas_rot_kernelIiLi512E19rocblas_complex_numIfEPS1_S2_PKfS4_EviT2_lllT3_lllT4_lT5_li
		.amdhsa_group_segment_fixed_size 0
		.amdhsa_private_segment_fixed_size 0
		.amdhsa_kernarg_size 368
		.amdhsa_user_sgpr_count 14
		.amdhsa_user_sgpr_dispatch_ptr 0
		.amdhsa_user_sgpr_queue_ptr 0
		.amdhsa_user_sgpr_kernarg_segment_ptr 1
		.amdhsa_user_sgpr_dispatch_id 0
		.amdhsa_user_sgpr_private_segment_size 0
		.amdhsa_wavefront_size32 1
		.amdhsa_uses_dynamic_stack 0
		.amdhsa_enable_private_segment 0
		.amdhsa_system_sgpr_workgroup_id_x 1
		.amdhsa_system_sgpr_workgroup_id_y 0
		.amdhsa_system_sgpr_workgroup_id_z 1
		.amdhsa_system_sgpr_workgroup_info 0
		.amdhsa_system_vgpr_workitem_id 0
		.amdhsa_next_free_vgpr 12
		.amdhsa_next_free_sgpr 32
		.amdhsa_reserve_vcc 1
		.amdhsa_float_round_mode_32 0
		.amdhsa_float_round_mode_16_64 0
		.amdhsa_float_denorm_mode_32 3
		.amdhsa_float_denorm_mode_16_64 3
		.amdhsa_dx10_clamp 1
		.amdhsa_ieee_mode 1
		.amdhsa_fp16_overflow 0
		.amdhsa_workgroup_processor_mode 1
		.amdhsa_memory_ordered 1
		.amdhsa_forward_progress 0
		.amdhsa_shared_vgpr_count 0
		.amdhsa_exception_fp_ieee_invalid_op 0
		.amdhsa_exception_fp_denorm_src 0
		.amdhsa_exception_fp_ieee_div_zero 0
		.amdhsa_exception_fp_ieee_overflow 0
		.amdhsa_exception_fp_ieee_underflow 0
		.amdhsa_exception_fp_ieee_inexact 0
		.amdhsa_exception_int_div_zero 0
	.end_amdhsa_kernel
	.section	.text._ZL18rocblas_rot_kernelIiLi512E19rocblas_complex_numIfEPS1_S2_PKfS4_EviT2_lllT3_lllT4_lT5_li,"axG",@progbits,_ZL18rocblas_rot_kernelIiLi512E19rocblas_complex_numIfEPS1_S2_PKfS4_EviT2_lllT3_lllT4_lT5_li,comdat
.Lfunc_end8:
	.size	_ZL18rocblas_rot_kernelIiLi512E19rocblas_complex_numIfEPS1_S2_PKfS4_EviT2_lllT3_lllT4_lT5_li, .Lfunc_end8-_ZL18rocblas_rot_kernelIiLi512E19rocblas_complex_numIfEPS1_S2_PKfS4_EviT2_lllT3_lllT4_lT5_li
                                        ; -- End function
	.section	.AMDGPU.csdata,"",@progbits
; Kernel info:
; codeLenInByte = 448
; NumSgprs: 34
; NumVgprs: 12
; ScratchSize: 0
; MemoryBound: 0
; FloatMode: 240
; IeeeMode: 1
; LDSByteSize: 0 bytes/workgroup (compile time only)
; SGPRBlocks: 4
; VGPRBlocks: 1
; NumSGPRsForWavesPerEU: 34
; NumVGPRsForWavesPerEU: 12
; Occupancy: 16
; WaveLimiterHint : 0
; COMPUTE_PGM_RSRC2:SCRATCH_EN: 0
; COMPUTE_PGM_RSRC2:USER_SGPR: 14
; COMPUTE_PGM_RSRC2:TRAP_HANDLER: 0
; COMPUTE_PGM_RSRC2:TGID_X_EN: 1
; COMPUTE_PGM_RSRC2:TGID_Y_EN: 0
; COMPUTE_PGM_RSRC2:TGID_Z_EN: 1
; COMPUTE_PGM_RSRC2:TIDIG_COMP_CNT: 0
	.section	.text._ZL18rocblas_rot_kernelIiLi512E19rocblas_complex_numIfEPS1_S2_ffEviT2_lllT3_lllT4_lT5_li,"axG",@progbits,_ZL18rocblas_rot_kernelIiLi512E19rocblas_complex_numIfEPS1_S2_ffEviT2_lllT3_lllT4_lT5_li,comdat
	.globl	_ZL18rocblas_rot_kernelIiLi512E19rocblas_complex_numIfEPS1_S2_ffEviT2_lllT3_lllT4_lT5_li ; -- Begin function _ZL18rocblas_rot_kernelIiLi512E19rocblas_complex_numIfEPS1_S2_ffEviT2_lllT3_lllT4_lT5_li
	.p2align	8
	.type	_ZL18rocblas_rot_kernelIiLi512E19rocblas_complex_numIfEPS1_S2_ffEviT2_lllT3_lllT4_lT5_li,@function
_ZL18rocblas_rot_kernelIiLi512E19rocblas_complex_numIfEPS1_S2_ffEviT2_lllT3_lllT4_lT5_li: ; @_ZL18rocblas_rot_kernelIiLi512E19rocblas_complex_numIfEPS1_S2_ffEviT2_lllT3_lllT4_lT5_li
; %bb.0:
	s_clause 0x1
	s_load_b32 s3, s[0:1], 0x7c
	s_load_b32 s2, s[0:1], 0x0
	s_waitcnt lgkmcnt(0)
	s_and_b32 s3, s3, 0xffff
	s_delay_alu instid0(SALU_CYCLE_1)
	v_mad_u64_u32 v[1:2], null, s14, s3, v[0:1]
	v_mov_b32_e32 v2, 0
	s_ashr_i32 s3, s2, 31
	s_delay_alu instid0(VALU_DEP_1) | instid1(SALU_CYCLE_1)
	v_cmp_gt_i64_e32 vcc_lo, s[2:3], v[1:2]
	s_and_saveexec_b32 s2, vcc_lo
	s_cbranch_execz .LBB9_2
; %bb.1:
	s_load_b512 s[16:31], s[0:1], 0x8
	s_waitcnt lgkmcnt(0)
	v_mad_u64_u32 v[2:3], null, v1, s28, 0
	v_mad_u64_u32 v[4:5], null, v1, s20, 0
	s_mul_i32 s3, s15, s31
	s_mul_hi_u32 s4, s15, s30
	s_mul_i32 s2, s15, s30
	s_add_i32 s3, s4, s3
	s_delay_alu instid0(VALU_DEP_2) | instskip(SKIP_1) | instid1(VALU_DEP_2)
	v_mov_b32_e32 v0, v3
	s_lshl_b64 s[2:3], s[2:3], 3
	v_mov_b32_e32 v3, v5
	s_add_u32 s7, s24, s2
	s_addc_u32 s8, s25, s3
	v_mad_u64_u32 v[5:6], null, v1, s29, v[0:1]
	s_delay_alu instid0(VALU_DEP_2) | instskip(SKIP_4) | instid1(VALU_DEP_2)
	v_mad_u64_u32 v[6:7], null, v1, s21, v[3:4]
	s_lshl_b64 s[2:3], s[26:27], 3
	s_mul_i32 s5, s15, s23
	s_mul_hi_u32 s6, s15, s22
	s_add_u32 s7, s7, s2
	v_mov_b32_e32 v3, v5
	s_mul_i32 s4, s15, s22
	s_delay_alu instid0(VALU_DEP_2)
	v_mov_b32_e32 v5, v6
	s_addc_u32 s8, s8, s3
	s_add_i32 s5, s6, s5
	v_lshlrev_b64 v[0:1], 3, v[2:3]
	s_lshl_b64 s[2:3], s[4:5], 3
	v_lshlrev_b64 v[2:3], 3, v[4:5]
	s_add_u32 s4, s16, s2
	s_addc_u32 s5, s17, s3
	s_lshl_b64 s[2:3], s[18:19], 3
	v_add_co_u32 v0, vcc_lo, s7, v0
	s_add_u32 s2, s4, s2
	v_add_co_ci_u32_e32 v1, vcc_lo, s8, v1, vcc_lo
	s_addc_u32 s3, s5, s3
	v_add_co_u32 v2, vcc_lo, s2, v2
	v_add_co_ci_u32_e32 v3, vcc_lo, s3, v3, vcc_lo
	global_load_b64 v[4:5], v[0:1], off
	global_load_b64 v[6:7], v[2:3], off
	s_clause 0x1
	s_load_b32 s2, s[0:1], 0x58
	s_load_b32 s0, s[0:1], 0x48
	s_waitcnt vmcnt(1) lgkmcnt(0)
	v_mul_f32_e32 v8, s2, v4
	s_waitcnt vmcnt(0)
	v_dual_mul_f32 v10, s2, v6 :: v_dual_mul_f32 v11, s2, v7
	s_delay_alu instid0(VALU_DEP_2) | instskip(NEXT) | instid1(VALU_DEP_2)
	v_dual_mul_f32 v9, s2, v5 :: v_dual_fmac_f32 v8, s0, v6
	v_fma_f32 v4, v4, s0, -v10
	s_delay_alu instid0(VALU_DEP_3) | instskip(NEXT) | instid1(VALU_DEP_3)
	v_fma_f32 v5, v5, s0, -v11
	v_fmac_f32_e32 v9, s0, v7
	global_store_b64 v[0:1], v[4:5], off
	global_store_b64 v[2:3], v[8:9], off
.LBB9_2:
	s_nop 0
	s_sendmsg sendmsg(MSG_DEALLOC_VGPRS)
	s_endpgm
	.section	.rodata,"a",@progbits
	.p2align	6, 0x0
	.amdhsa_kernel _ZL18rocblas_rot_kernelIiLi512E19rocblas_complex_numIfEPS1_S2_ffEviT2_lllT3_lllT4_lT5_li
		.amdhsa_group_segment_fixed_size 0
		.amdhsa_private_segment_fixed_size 0
		.amdhsa_kernarg_size 368
		.amdhsa_user_sgpr_count 14
		.amdhsa_user_sgpr_dispatch_ptr 0
		.amdhsa_user_sgpr_queue_ptr 0
		.amdhsa_user_sgpr_kernarg_segment_ptr 1
		.amdhsa_user_sgpr_dispatch_id 0
		.amdhsa_user_sgpr_private_segment_size 0
		.amdhsa_wavefront_size32 1
		.amdhsa_uses_dynamic_stack 0
		.amdhsa_enable_private_segment 0
		.amdhsa_system_sgpr_workgroup_id_x 1
		.amdhsa_system_sgpr_workgroup_id_y 0
		.amdhsa_system_sgpr_workgroup_id_z 1
		.amdhsa_system_sgpr_workgroup_info 0
		.amdhsa_system_vgpr_workitem_id 0
		.amdhsa_next_free_vgpr 12
		.amdhsa_next_free_sgpr 32
		.amdhsa_reserve_vcc 1
		.amdhsa_float_round_mode_32 0
		.amdhsa_float_round_mode_16_64 0
		.amdhsa_float_denorm_mode_32 3
		.amdhsa_float_denorm_mode_16_64 3
		.amdhsa_dx10_clamp 1
		.amdhsa_ieee_mode 1
		.amdhsa_fp16_overflow 0
		.amdhsa_workgroup_processor_mode 1
		.amdhsa_memory_ordered 1
		.amdhsa_forward_progress 0
		.amdhsa_shared_vgpr_count 0
		.amdhsa_exception_fp_ieee_invalid_op 0
		.amdhsa_exception_fp_denorm_src 0
		.amdhsa_exception_fp_ieee_div_zero 0
		.amdhsa_exception_fp_ieee_overflow 0
		.amdhsa_exception_fp_ieee_underflow 0
		.amdhsa_exception_fp_ieee_inexact 0
		.amdhsa_exception_int_div_zero 0
	.end_amdhsa_kernel
	.section	.text._ZL18rocblas_rot_kernelIiLi512E19rocblas_complex_numIfEPS1_S2_ffEviT2_lllT3_lllT4_lT5_li,"axG",@progbits,_ZL18rocblas_rot_kernelIiLi512E19rocblas_complex_numIfEPS1_S2_ffEviT2_lllT3_lllT4_lT5_li,comdat
.Lfunc_end9:
	.size	_ZL18rocblas_rot_kernelIiLi512E19rocblas_complex_numIfEPS1_S2_ffEviT2_lllT3_lllT4_lT5_li, .Lfunc_end9-_ZL18rocblas_rot_kernelIiLi512E19rocblas_complex_numIfEPS1_S2_ffEviT2_lllT3_lllT4_lT5_li
                                        ; -- End function
	.section	.AMDGPU.csdata,"",@progbits
; Kernel info:
; codeLenInByte = 380
; NumSgprs: 34
; NumVgprs: 12
; ScratchSize: 0
; MemoryBound: 0
; FloatMode: 240
; IeeeMode: 1
; LDSByteSize: 0 bytes/workgroup (compile time only)
; SGPRBlocks: 4
; VGPRBlocks: 1
; NumSGPRsForWavesPerEU: 34
; NumVGPRsForWavesPerEU: 12
; Occupancy: 16
; WaveLimiterHint : 0
; COMPUTE_PGM_RSRC2:SCRATCH_EN: 0
; COMPUTE_PGM_RSRC2:USER_SGPR: 14
; COMPUTE_PGM_RSRC2:TRAP_HANDLER: 0
; COMPUTE_PGM_RSRC2:TGID_X_EN: 1
; COMPUTE_PGM_RSRC2:TGID_Y_EN: 0
; COMPUTE_PGM_RSRC2:TGID_Z_EN: 1
; COMPUTE_PGM_RSRC2:TIDIG_COMP_CNT: 0
	.section	.text._ZL18rocblas_rot_kernelIiLi512E19rocblas_complex_numIfEPS1_S2_PKfPKS1_EviT2_lllT3_lllT4_lT5_li,"axG",@progbits,_ZL18rocblas_rot_kernelIiLi512E19rocblas_complex_numIfEPS1_S2_PKfPKS1_EviT2_lllT3_lllT4_lT5_li,comdat
	.globl	_ZL18rocblas_rot_kernelIiLi512E19rocblas_complex_numIfEPS1_S2_PKfPKS1_EviT2_lllT3_lllT4_lT5_li ; -- Begin function _ZL18rocblas_rot_kernelIiLi512E19rocblas_complex_numIfEPS1_S2_PKfPKS1_EviT2_lllT3_lllT4_lT5_li
	.p2align	8
	.type	_ZL18rocblas_rot_kernelIiLi512E19rocblas_complex_numIfEPS1_S2_PKfPKS1_EviT2_lllT3_lllT4_lT5_li,@function
_ZL18rocblas_rot_kernelIiLi512E19rocblas_complex_numIfEPS1_S2_PKfPKS1_EviT2_lllT3_lllT4_lT5_li: ; @_ZL18rocblas_rot_kernelIiLi512E19rocblas_complex_numIfEPS1_S2_PKfPKS1_EviT2_lllT3_lllT4_lT5_li
; %bb.0:
	s_clause 0x1
	s_load_b32 s3, s[0:1], 0x7c
	s_load_b32 s2, s[0:1], 0x0
	s_waitcnt lgkmcnt(0)
	s_and_b32 s3, s3, 0xffff
	s_delay_alu instid0(SALU_CYCLE_1)
	v_mad_u64_u32 v[1:2], null, s14, s3, v[0:1]
	v_mov_b32_e32 v2, 0
	s_ashr_i32 s3, s2, 31
	s_delay_alu instid0(VALU_DEP_1) | instid1(SALU_CYCLE_1)
	v_cmp_gt_i64_e32 vcc_lo, s[2:3], v[1:2]
	s_and_saveexec_b32 s2, vcc_lo
	s_cbranch_execz .LBB10_2
; %bb.1:
	s_load_b512 s[16:31], s[0:1], 0x8
	s_waitcnt lgkmcnt(0)
	v_mad_u64_u32 v[2:3], null, v1, s28, 0
	v_mad_u64_u32 v[4:5], null, v1, s20, 0
	s_mul_i32 s3, s15, s31
	s_mul_hi_u32 s4, s15, s30
	s_mul_i32 s2, s15, s30
	s_add_i32 s3, s4, s3
	s_delay_alu instid0(VALU_DEP_2) | instskip(SKIP_1) | instid1(VALU_DEP_2)
	v_mov_b32_e32 v0, v3
	s_lshl_b64 s[2:3], s[2:3], 3
	v_mov_b32_e32 v3, v5
	s_add_u32 s7, s24, s2
	s_addc_u32 s8, s25, s3
	v_mad_u64_u32 v[5:6], null, v1, s29, v[0:1]
	s_delay_alu instid0(VALU_DEP_2) | instskip(SKIP_4) | instid1(VALU_DEP_2)
	v_mad_u64_u32 v[6:7], null, v1, s21, v[3:4]
	s_lshl_b64 s[2:3], s[26:27], 3
	s_mul_i32 s5, s15, s23
	s_mul_hi_u32 s6, s15, s22
	s_add_u32 s7, s7, s2
	v_mov_b32_e32 v3, v5
	s_mul_i32 s4, s15, s22
	s_delay_alu instid0(VALU_DEP_2)
	v_mov_b32_e32 v5, v6
	s_addc_u32 s8, s8, s3
	s_add_i32 s5, s6, s5
	v_lshlrev_b64 v[0:1], 3, v[2:3]
	s_lshl_b64 s[2:3], s[4:5], 3
	v_lshlrev_b64 v[2:3], 3, v[4:5]
	s_add_u32 s4, s16, s2
	s_addc_u32 s5, s17, s3
	s_lshl_b64 s[2:3], s[18:19], 3
	v_add_co_u32 v0, vcc_lo, s7, v0
	s_add_u32 s2, s4, s2
	v_add_co_ci_u32_e32 v1, vcc_lo, s8, v1, vcc_lo
	s_addc_u32 s3, s5, s3
	v_add_co_u32 v2, vcc_lo, s2, v2
	v_add_co_ci_u32_e32 v3, vcc_lo, s3, v3, vcc_lo
	global_load_b64 v[4:5], v[0:1], off
	global_load_b64 v[6:7], v[2:3], off
	s_load_b256 s[0:7], s[0:1], 0x48
	s_waitcnt lgkmcnt(0)
	s_mul_i32 s7, s15, s7
	s_mul_hi_u32 s8, s15, s6
	s_mul_i32 s6, s15, s6
	s_add_i32 s7, s8, s7
	s_mul_i32 s3, s15, s3
	s_lshl_b64 s[6:7], s[6:7], 3
	s_delay_alu instid0(SALU_CYCLE_1)
	s_add_u32 s4, s4, s6
	s_addc_u32 s5, s5, s7
	s_mul_hi_u32 s6, s15, s2
	s_load_b64 s[4:5], s[4:5], 0x0
	s_mul_i32 s2, s15, s2
	s_add_i32 s3, s6, s3
	s_delay_alu instid0(SALU_CYCLE_1) | instskip(NEXT) | instid1(SALU_CYCLE_1)
	s_lshl_b64 s[2:3], s[2:3], 2
	s_add_u32 s0, s0, s2
	s_addc_u32 s1, s1, s3
	s_load_b32 s0, s[0:1], 0x0
	s_waitcnt vmcnt(1) lgkmcnt(0)
	v_mul_f32_e32 v8, s5, v5
	s_waitcnt vmcnt(0)
	v_dual_mul_f32 v10, s5, v7 :: v_dual_mul_f32 v11, s5, v6
	v_mul_f32_e32 v9, s4, v5
	s_delay_alu instid0(VALU_DEP_3) | instskip(NEXT) | instid1(VALU_DEP_3)
	v_fma_f32 v8, s4, v4, -v8
	v_fmac_f32_e32 v10, s4, v6
	s_delay_alu instid0(VALU_DEP_4) | instskip(NEXT) | instid1(VALU_DEP_3)
	v_fma_f32 v11, s4, v7, -v11
	v_dual_fmac_f32 v9, s5, v4 :: v_dual_fmac_f32 v8, s0, v6
	s_delay_alu instid0(VALU_DEP_3) | instskip(NEXT) | instid1(VALU_DEP_3)
	v_fma_f32 v4, s0, v4, -v10
	v_fma_f32 v5, s0, v5, -v11
	s_delay_alu instid0(VALU_DEP_3)
	v_fmac_f32_e32 v9, s0, v7
	global_store_b64 v[0:1], v[4:5], off
	global_store_b64 v[2:3], v[8:9], off
.LBB10_2:
	s_nop 0
	s_sendmsg sendmsg(MSG_DEALLOC_VGPRS)
	s_endpgm
	.section	.rodata,"a",@progbits
	.p2align	6, 0x0
	.amdhsa_kernel _ZL18rocblas_rot_kernelIiLi512E19rocblas_complex_numIfEPS1_S2_PKfPKS1_EviT2_lllT3_lllT4_lT5_li
		.amdhsa_group_segment_fixed_size 0
		.amdhsa_private_segment_fixed_size 0
		.amdhsa_kernarg_size 368
		.amdhsa_user_sgpr_count 14
		.amdhsa_user_sgpr_dispatch_ptr 0
		.amdhsa_user_sgpr_queue_ptr 0
		.amdhsa_user_sgpr_kernarg_segment_ptr 1
		.amdhsa_user_sgpr_dispatch_id 0
		.amdhsa_user_sgpr_private_segment_size 0
		.amdhsa_wavefront_size32 1
		.amdhsa_uses_dynamic_stack 0
		.amdhsa_enable_private_segment 0
		.amdhsa_system_sgpr_workgroup_id_x 1
		.amdhsa_system_sgpr_workgroup_id_y 0
		.amdhsa_system_sgpr_workgroup_id_z 1
		.amdhsa_system_sgpr_workgroup_info 0
		.amdhsa_system_vgpr_workitem_id 0
		.amdhsa_next_free_vgpr 12
		.amdhsa_next_free_sgpr 32
		.amdhsa_reserve_vcc 1
		.amdhsa_float_round_mode_32 0
		.amdhsa_float_round_mode_16_64 0
		.amdhsa_float_denorm_mode_32 3
		.amdhsa_float_denorm_mode_16_64 3
		.amdhsa_dx10_clamp 1
		.amdhsa_ieee_mode 1
		.amdhsa_fp16_overflow 0
		.amdhsa_workgroup_processor_mode 1
		.amdhsa_memory_ordered 1
		.amdhsa_forward_progress 0
		.amdhsa_shared_vgpr_count 0
		.amdhsa_exception_fp_ieee_invalid_op 0
		.amdhsa_exception_fp_denorm_src 0
		.amdhsa_exception_fp_ieee_div_zero 0
		.amdhsa_exception_fp_ieee_overflow 0
		.amdhsa_exception_fp_ieee_underflow 0
		.amdhsa_exception_fp_ieee_inexact 0
		.amdhsa_exception_int_div_zero 0
	.end_amdhsa_kernel
	.section	.text._ZL18rocblas_rot_kernelIiLi512E19rocblas_complex_numIfEPS1_S2_PKfPKS1_EviT2_lllT3_lllT4_lT5_li,"axG",@progbits,_ZL18rocblas_rot_kernelIiLi512E19rocblas_complex_numIfEPS1_S2_PKfPKS1_EviT2_lllT3_lllT4_lT5_li,comdat
.Lfunc_end10:
	.size	_ZL18rocblas_rot_kernelIiLi512E19rocblas_complex_numIfEPS1_S2_PKfPKS1_EviT2_lllT3_lllT4_lT5_li, .Lfunc_end10-_ZL18rocblas_rot_kernelIiLi512E19rocblas_complex_numIfEPS1_S2_PKfPKS1_EviT2_lllT3_lllT4_lT5_li
                                        ; -- End function
	.section	.AMDGPU.csdata,"",@progbits
; Kernel info:
; codeLenInByte = 484
; NumSgprs: 34
; NumVgprs: 12
; ScratchSize: 0
; MemoryBound: 0
; FloatMode: 240
; IeeeMode: 1
; LDSByteSize: 0 bytes/workgroup (compile time only)
; SGPRBlocks: 4
; VGPRBlocks: 1
; NumSGPRsForWavesPerEU: 34
; NumVGPRsForWavesPerEU: 12
; Occupancy: 16
; WaveLimiterHint : 0
; COMPUTE_PGM_RSRC2:SCRATCH_EN: 0
; COMPUTE_PGM_RSRC2:USER_SGPR: 14
; COMPUTE_PGM_RSRC2:TRAP_HANDLER: 0
; COMPUTE_PGM_RSRC2:TGID_X_EN: 1
; COMPUTE_PGM_RSRC2:TGID_Y_EN: 0
; COMPUTE_PGM_RSRC2:TGID_Z_EN: 1
; COMPUTE_PGM_RSRC2:TIDIG_COMP_CNT: 0
	.section	.text._ZL18rocblas_rot_kernelIiLi512E19rocblas_complex_numIfEPS1_S2_fS1_EviT2_lllT3_lllT4_lT5_li,"axG",@progbits,_ZL18rocblas_rot_kernelIiLi512E19rocblas_complex_numIfEPS1_S2_fS1_EviT2_lllT3_lllT4_lT5_li,comdat
	.globl	_ZL18rocblas_rot_kernelIiLi512E19rocblas_complex_numIfEPS1_S2_fS1_EviT2_lllT3_lllT4_lT5_li ; -- Begin function _ZL18rocblas_rot_kernelIiLi512E19rocblas_complex_numIfEPS1_S2_fS1_EviT2_lllT3_lllT4_lT5_li
	.p2align	8
	.type	_ZL18rocblas_rot_kernelIiLi512E19rocblas_complex_numIfEPS1_S2_fS1_EviT2_lllT3_lllT4_lT5_li,@function
_ZL18rocblas_rot_kernelIiLi512E19rocblas_complex_numIfEPS1_S2_fS1_EviT2_lllT3_lllT4_lT5_li: ; @_ZL18rocblas_rot_kernelIiLi512E19rocblas_complex_numIfEPS1_S2_fS1_EviT2_lllT3_lllT4_lT5_li
; %bb.0:
	s_clause 0x1
	s_load_b32 s3, s[0:1], 0x7c
	s_load_b32 s2, s[0:1], 0x0
	s_waitcnt lgkmcnt(0)
	s_and_b32 s3, s3, 0xffff
	s_delay_alu instid0(SALU_CYCLE_1)
	v_mad_u64_u32 v[1:2], null, s14, s3, v[0:1]
	v_mov_b32_e32 v2, 0
	s_ashr_i32 s3, s2, 31
	s_delay_alu instid0(VALU_DEP_1) | instid1(SALU_CYCLE_1)
	v_cmp_gt_i64_e32 vcc_lo, s[2:3], v[1:2]
	s_and_saveexec_b32 s2, vcc_lo
	s_cbranch_execz .LBB11_2
; %bb.1:
	s_load_b512 s[16:31], s[0:1], 0x8
	s_waitcnt lgkmcnt(0)
	v_mad_u64_u32 v[2:3], null, v1, s28, 0
	v_mad_u64_u32 v[4:5], null, v1, s20, 0
	s_mul_i32 s3, s15, s31
	s_mul_hi_u32 s4, s15, s30
	s_mul_i32 s2, s15, s30
	s_add_i32 s3, s4, s3
	s_delay_alu instid0(VALU_DEP_2) | instskip(SKIP_1) | instid1(VALU_DEP_2)
	v_mov_b32_e32 v0, v3
	s_lshl_b64 s[2:3], s[2:3], 3
	v_mov_b32_e32 v3, v5
	s_add_u32 s7, s24, s2
	s_addc_u32 s8, s25, s3
	v_mad_u64_u32 v[5:6], null, v1, s29, v[0:1]
	s_delay_alu instid0(VALU_DEP_2) | instskip(SKIP_4) | instid1(VALU_DEP_2)
	v_mad_u64_u32 v[6:7], null, v1, s21, v[3:4]
	s_lshl_b64 s[2:3], s[26:27], 3
	s_mul_i32 s5, s15, s23
	s_mul_hi_u32 s6, s15, s22
	s_add_u32 s7, s7, s2
	v_mov_b32_e32 v3, v5
	s_mul_i32 s4, s15, s22
	s_delay_alu instid0(VALU_DEP_2)
	v_mov_b32_e32 v5, v6
	s_addc_u32 s8, s8, s3
	s_add_i32 s5, s6, s5
	v_lshlrev_b64 v[0:1], 3, v[2:3]
	s_lshl_b64 s[2:3], s[4:5], 3
	v_lshlrev_b64 v[2:3], 3, v[4:5]
	s_add_u32 s4, s16, s2
	s_addc_u32 s5, s17, s3
	s_lshl_b64 s[2:3], s[18:19], 3
	v_add_co_u32 v0, vcc_lo, s7, v0
	s_add_u32 s2, s4, s2
	v_add_co_ci_u32_e32 v1, vcc_lo, s8, v1, vcc_lo
	s_addc_u32 s3, s5, s3
	v_add_co_u32 v2, vcc_lo, s2, v2
	v_add_co_ci_u32_e32 v3, vcc_lo, s3, v3, vcc_lo
	global_load_b64 v[4:5], v[0:1], off
	global_load_b64 v[6:7], v[2:3], off
	s_clause 0x1
	s_load_b64 s[2:3], s[0:1], 0x58
	s_load_b32 s0, s[0:1], 0x48
	s_waitcnt vmcnt(1) lgkmcnt(0)
	v_mul_f32_e32 v8, s3, v5
	s_waitcnt vmcnt(0)
	v_dual_mul_f32 v10, s3, v7 :: v_dual_mul_f32 v11, s3, v6
	v_mul_f32_e32 v9, s2, v5
	s_delay_alu instid0(VALU_DEP_3) | instskip(NEXT) | instid1(VALU_DEP_3)
	v_fma_f32 v8, s2, v4, -v8
	v_fmac_f32_e32 v10, s2, v6
	s_delay_alu instid0(VALU_DEP_4) | instskip(NEXT) | instid1(VALU_DEP_3)
	v_fma_f32 v11, s2, v7, -v11
	v_dual_fmac_f32 v9, s3, v4 :: v_dual_fmac_f32 v8, s0, v6
	s_delay_alu instid0(VALU_DEP_3) | instskip(NEXT) | instid1(VALU_DEP_3)
	v_fma_f32 v4, v4, s0, -v10
	v_fma_f32 v5, v5, s0, -v11
	s_delay_alu instid0(VALU_DEP_3)
	v_fmac_f32_e32 v9, s0, v7
	global_store_b64 v[0:1], v[4:5], off
	global_store_b64 v[2:3], v[8:9], off
.LBB11_2:
	s_nop 0
	s_sendmsg sendmsg(MSG_DEALLOC_VGPRS)
	s_endpgm
	.section	.rodata,"a",@progbits
	.p2align	6, 0x0
	.amdhsa_kernel _ZL18rocblas_rot_kernelIiLi512E19rocblas_complex_numIfEPS1_S2_fS1_EviT2_lllT3_lllT4_lT5_li
		.amdhsa_group_segment_fixed_size 0
		.amdhsa_private_segment_fixed_size 0
		.amdhsa_kernarg_size 368
		.amdhsa_user_sgpr_count 14
		.amdhsa_user_sgpr_dispatch_ptr 0
		.amdhsa_user_sgpr_queue_ptr 0
		.amdhsa_user_sgpr_kernarg_segment_ptr 1
		.amdhsa_user_sgpr_dispatch_id 0
		.amdhsa_user_sgpr_private_segment_size 0
		.amdhsa_wavefront_size32 1
		.amdhsa_uses_dynamic_stack 0
		.amdhsa_enable_private_segment 0
		.amdhsa_system_sgpr_workgroup_id_x 1
		.amdhsa_system_sgpr_workgroup_id_y 0
		.amdhsa_system_sgpr_workgroup_id_z 1
		.amdhsa_system_sgpr_workgroup_info 0
		.amdhsa_system_vgpr_workitem_id 0
		.amdhsa_next_free_vgpr 12
		.amdhsa_next_free_sgpr 32
		.amdhsa_reserve_vcc 1
		.amdhsa_float_round_mode_32 0
		.amdhsa_float_round_mode_16_64 0
		.amdhsa_float_denorm_mode_32 3
		.amdhsa_float_denorm_mode_16_64 3
		.amdhsa_dx10_clamp 1
		.amdhsa_ieee_mode 1
		.amdhsa_fp16_overflow 0
		.amdhsa_workgroup_processor_mode 1
		.amdhsa_memory_ordered 1
		.amdhsa_forward_progress 0
		.amdhsa_shared_vgpr_count 0
		.amdhsa_exception_fp_ieee_invalid_op 0
		.amdhsa_exception_fp_denorm_src 0
		.amdhsa_exception_fp_ieee_div_zero 0
		.amdhsa_exception_fp_ieee_overflow 0
		.amdhsa_exception_fp_ieee_underflow 0
		.amdhsa_exception_fp_ieee_inexact 0
		.amdhsa_exception_int_div_zero 0
	.end_amdhsa_kernel
	.section	.text._ZL18rocblas_rot_kernelIiLi512E19rocblas_complex_numIfEPS1_S2_fS1_EviT2_lllT3_lllT4_lT5_li,"axG",@progbits,_ZL18rocblas_rot_kernelIiLi512E19rocblas_complex_numIfEPS1_S2_fS1_EviT2_lllT3_lllT4_lT5_li,comdat
.Lfunc_end11:
	.size	_ZL18rocblas_rot_kernelIiLi512E19rocblas_complex_numIfEPS1_S2_fS1_EviT2_lllT3_lllT4_lT5_li, .Lfunc_end11-_ZL18rocblas_rot_kernelIiLi512E19rocblas_complex_numIfEPS1_S2_fS1_EviT2_lllT3_lllT4_lT5_li
                                        ; -- End function
	.section	.AMDGPU.csdata,"",@progbits
; Kernel info:
; codeLenInByte = 412
; NumSgprs: 34
; NumVgprs: 12
; ScratchSize: 0
; MemoryBound: 0
; FloatMode: 240
; IeeeMode: 1
; LDSByteSize: 0 bytes/workgroup (compile time only)
; SGPRBlocks: 4
; VGPRBlocks: 1
; NumSGPRsForWavesPerEU: 34
; NumVGPRsForWavesPerEU: 12
; Occupancy: 16
; WaveLimiterHint : 0
; COMPUTE_PGM_RSRC2:SCRATCH_EN: 0
; COMPUTE_PGM_RSRC2:USER_SGPR: 14
; COMPUTE_PGM_RSRC2:TRAP_HANDLER: 0
; COMPUTE_PGM_RSRC2:TGID_X_EN: 1
; COMPUTE_PGM_RSRC2:TGID_Y_EN: 0
; COMPUTE_PGM_RSRC2:TGID_Z_EN: 1
; COMPUTE_PGM_RSRC2:TIDIG_COMP_CNT: 0
	.section	.text._ZL18rocblas_rot_kernelIiLi512E19rocblas_complex_numIfEPS1_S2_PKS1_S4_EviT2_lllT3_lllT4_lT5_li,"axG",@progbits,_ZL18rocblas_rot_kernelIiLi512E19rocblas_complex_numIfEPS1_S2_PKS1_S4_EviT2_lllT3_lllT4_lT5_li,comdat
	.globl	_ZL18rocblas_rot_kernelIiLi512E19rocblas_complex_numIfEPS1_S2_PKS1_S4_EviT2_lllT3_lllT4_lT5_li ; -- Begin function _ZL18rocblas_rot_kernelIiLi512E19rocblas_complex_numIfEPS1_S2_PKS1_S4_EviT2_lllT3_lllT4_lT5_li
	.p2align	8
	.type	_ZL18rocblas_rot_kernelIiLi512E19rocblas_complex_numIfEPS1_S2_PKS1_S4_EviT2_lllT3_lllT4_lT5_li,@function
_ZL18rocblas_rot_kernelIiLi512E19rocblas_complex_numIfEPS1_S2_PKS1_S4_EviT2_lllT3_lllT4_lT5_li: ; @_ZL18rocblas_rot_kernelIiLi512E19rocblas_complex_numIfEPS1_S2_PKS1_S4_EviT2_lllT3_lllT4_lT5_li
; %bb.0:
	s_clause 0x1
	s_load_b32 s3, s[0:1], 0x7c
	s_load_b32 s2, s[0:1], 0x0
	s_waitcnt lgkmcnt(0)
	s_and_b32 s3, s3, 0xffff
	s_delay_alu instid0(SALU_CYCLE_1)
	v_mad_u64_u32 v[1:2], null, s14, s3, v[0:1]
	v_mov_b32_e32 v2, 0
	s_ashr_i32 s3, s2, 31
	s_delay_alu instid0(VALU_DEP_1) | instid1(SALU_CYCLE_1)
	v_cmp_gt_i64_e32 vcc_lo, s[2:3], v[1:2]
	s_and_saveexec_b32 s2, vcc_lo
	s_cbranch_execz .LBB12_2
; %bb.1:
	s_load_b512 s[16:31], s[0:1], 0x8
	s_waitcnt lgkmcnt(0)
	v_mad_u64_u32 v[2:3], null, v1, s28, 0
	v_mad_u64_u32 v[4:5], null, v1, s20, 0
	s_mul_i32 s3, s15, s31
	s_mul_hi_u32 s4, s15, s30
	s_mul_i32 s2, s15, s30
	s_add_i32 s3, s4, s3
	s_delay_alu instid0(VALU_DEP_2) | instskip(SKIP_1) | instid1(VALU_DEP_2)
	v_mov_b32_e32 v0, v3
	s_lshl_b64 s[2:3], s[2:3], 3
	v_mov_b32_e32 v3, v5
	s_add_u32 s7, s24, s2
	s_addc_u32 s8, s25, s3
	v_mad_u64_u32 v[5:6], null, v1, s29, v[0:1]
	s_delay_alu instid0(VALU_DEP_2) | instskip(SKIP_4) | instid1(VALU_DEP_2)
	v_mad_u64_u32 v[6:7], null, v1, s21, v[3:4]
	s_lshl_b64 s[2:3], s[26:27], 3
	s_mul_i32 s5, s15, s23
	s_mul_hi_u32 s6, s15, s22
	s_add_u32 s7, s7, s2
	v_mov_b32_e32 v3, v5
	s_mul_i32 s4, s15, s22
	s_delay_alu instid0(VALU_DEP_2)
	v_mov_b32_e32 v5, v6
	s_addc_u32 s8, s8, s3
	s_add_i32 s5, s6, s5
	v_lshlrev_b64 v[0:1], 3, v[2:3]
	s_lshl_b64 s[2:3], s[4:5], 3
	v_lshlrev_b64 v[2:3], 3, v[4:5]
	s_add_u32 s4, s16, s2
	s_addc_u32 s5, s17, s3
	s_lshl_b64 s[2:3], s[18:19], 3
	v_add_co_u32 v0, vcc_lo, s7, v0
	s_add_u32 s2, s4, s2
	v_add_co_ci_u32_e32 v1, vcc_lo, s8, v1, vcc_lo
	s_addc_u32 s3, s5, s3
	v_add_co_u32 v2, vcc_lo, s2, v2
	v_add_co_ci_u32_e32 v3, vcc_lo, s3, v3, vcc_lo
	global_load_b64 v[4:5], v[0:1], off
	global_load_b64 v[6:7], v[2:3], off
	s_load_b256 s[0:7], s[0:1], 0x48
	s_waitcnt lgkmcnt(0)
	s_mul_i32 s7, s15, s7
	s_mul_hi_u32 s8, s15, s6
	s_mul_i32 s6, s15, s6
	s_add_i32 s7, s8, s7
	s_mul_i32 s3, s15, s3
	s_lshl_b64 s[6:7], s[6:7], 3
	s_delay_alu instid0(SALU_CYCLE_1)
	s_add_u32 s4, s4, s6
	s_addc_u32 s5, s5, s7
	s_mul_hi_u32 s6, s15, s2
	s_load_b64 s[4:5], s[4:5], 0x0
	s_mul_i32 s2, s15, s2
	s_add_i32 s3, s6, s3
	s_delay_alu instid0(SALU_CYCLE_1) | instskip(NEXT) | instid1(SALU_CYCLE_1)
	s_lshl_b64 s[2:3], s[2:3], 3
	s_add_u32 s0, s0, s2
	s_addc_u32 s1, s1, s3
	s_load_b32 s0, s[0:1], 0x0
	s_waitcnt vmcnt(1) lgkmcnt(0)
	v_mul_f32_e32 v8, s5, v5
	s_waitcnt vmcnt(0)
	v_dual_mul_f32 v10, s5, v7 :: v_dual_mul_f32 v11, s5, v6
	v_mul_f32_e32 v9, s4, v5
	s_delay_alu instid0(VALU_DEP_3) | instskip(NEXT) | instid1(VALU_DEP_3)
	v_fma_f32 v8, s4, v4, -v8
	v_fmac_f32_e32 v10, s4, v6
	s_delay_alu instid0(VALU_DEP_4) | instskip(NEXT) | instid1(VALU_DEP_3)
	v_fma_f32 v11, s4, v7, -v11
	v_dual_fmac_f32 v9, s5, v4 :: v_dual_fmac_f32 v8, s0, v6
	s_delay_alu instid0(VALU_DEP_3) | instskip(NEXT) | instid1(VALU_DEP_3)
	v_fma_f32 v4, s0, v4, -v10
	v_fma_f32 v5, s0, v5, -v11
	s_delay_alu instid0(VALU_DEP_3)
	v_fmac_f32_e32 v9, s0, v7
	global_store_b64 v[0:1], v[4:5], off
	global_store_b64 v[2:3], v[8:9], off
.LBB12_2:
	s_nop 0
	s_sendmsg sendmsg(MSG_DEALLOC_VGPRS)
	s_endpgm
	.section	.rodata,"a",@progbits
	.p2align	6, 0x0
	.amdhsa_kernel _ZL18rocblas_rot_kernelIiLi512E19rocblas_complex_numIfEPS1_S2_PKS1_S4_EviT2_lllT3_lllT4_lT5_li
		.amdhsa_group_segment_fixed_size 0
		.amdhsa_private_segment_fixed_size 0
		.amdhsa_kernarg_size 368
		.amdhsa_user_sgpr_count 14
		.amdhsa_user_sgpr_dispatch_ptr 0
		.amdhsa_user_sgpr_queue_ptr 0
		.amdhsa_user_sgpr_kernarg_segment_ptr 1
		.amdhsa_user_sgpr_dispatch_id 0
		.amdhsa_user_sgpr_private_segment_size 0
		.amdhsa_wavefront_size32 1
		.amdhsa_uses_dynamic_stack 0
		.amdhsa_enable_private_segment 0
		.amdhsa_system_sgpr_workgroup_id_x 1
		.amdhsa_system_sgpr_workgroup_id_y 0
		.amdhsa_system_sgpr_workgroup_id_z 1
		.amdhsa_system_sgpr_workgroup_info 0
		.amdhsa_system_vgpr_workitem_id 0
		.amdhsa_next_free_vgpr 12
		.amdhsa_next_free_sgpr 32
		.amdhsa_reserve_vcc 1
		.amdhsa_float_round_mode_32 0
		.amdhsa_float_round_mode_16_64 0
		.amdhsa_float_denorm_mode_32 3
		.amdhsa_float_denorm_mode_16_64 3
		.amdhsa_dx10_clamp 1
		.amdhsa_ieee_mode 1
		.amdhsa_fp16_overflow 0
		.amdhsa_workgroup_processor_mode 1
		.amdhsa_memory_ordered 1
		.amdhsa_forward_progress 0
		.amdhsa_shared_vgpr_count 0
		.amdhsa_exception_fp_ieee_invalid_op 0
		.amdhsa_exception_fp_denorm_src 0
		.amdhsa_exception_fp_ieee_div_zero 0
		.amdhsa_exception_fp_ieee_overflow 0
		.amdhsa_exception_fp_ieee_underflow 0
		.amdhsa_exception_fp_ieee_inexact 0
		.amdhsa_exception_int_div_zero 0
	.end_amdhsa_kernel
	.section	.text._ZL18rocblas_rot_kernelIiLi512E19rocblas_complex_numIfEPS1_S2_PKS1_S4_EviT2_lllT3_lllT4_lT5_li,"axG",@progbits,_ZL18rocblas_rot_kernelIiLi512E19rocblas_complex_numIfEPS1_S2_PKS1_S4_EviT2_lllT3_lllT4_lT5_li,comdat
.Lfunc_end12:
	.size	_ZL18rocblas_rot_kernelIiLi512E19rocblas_complex_numIfEPS1_S2_PKS1_S4_EviT2_lllT3_lllT4_lT5_li, .Lfunc_end12-_ZL18rocblas_rot_kernelIiLi512E19rocblas_complex_numIfEPS1_S2_PKS1_S4_EviT2_lllT3_lllT4_lT5_li
                                        ; -- End function
	.section	.AMDGPU.csdata,"",@progbits
; Kernel info:
; codeLenInByte = 484
; NumSgprs: 34
; NumVgprs: 12
; ScratchSize: 0
; MemoryBound: 0
; FloatMode: 240
; IeeeMode: 1
; LDSByteSize: 0 bytes/workgroup (compile time only)
; SGPRBlocks: 4
; VGPRBlocks: 1
; NumSGPRsForWavesPerEU: 34
; NumVGPRsForWavesPerEU: 12
; Occupancy: 16
; WaveLimiterHint : 0
; COMPUTE_PGM_RSRC2:SCRATCH_EN: 0
; COMPUTE_PGM_RSRC2:USER_SGPR: 14
; COMPUTE_PGM_RSRC2:TRAP_HANDLER: 0
; COMPUTE_PGM_RSRC2:TGID_X_EN: 1
; COMPUTE_PGM_RSRC2:TGID_Y_EN: 0
; COMPUTE_PGM_RSRC2:TGID_Z_EN: 1
; COMPUTE_PGM_RSRC2:TIDIG_COMP_CNT: 0
	.section	.text._ZL18rocblas_rot_kernelIiLi512E19rocblas_complex_numIfEPS1_S2_S1_S1_EviT2_lllT3_lllT4_lT5_li,"axG",@progbits,_ZL18rocblas_rot_kernelIiLi512E19rocblas_complex_numIfEPS1_S2_S1_S1_EviT2_lllT3_lllT4_lT5_li,comdat
	.globl	_ZL18rocblas_rot_kernelIiLi512E19rocblas_complex_numIfEPS1_S2_S1_S1_EviT2_lllT3_lllT4_lT5_li ; -- Begin function _ZL18rocblas_rot_kernelIiLi512E19rocblas_complex_numIfEPS1_S2_S1_S1_EviT2_lllT3_lllT4_lT5_li
	.p2align	8
	.type	_ZL18rocblas_rot_kernelIiLi512E19rocblas_complex_numIfEPS1_S2_S1_S1_EviT2_lllT3_lllT4_lT5_li,@function
_ZL18rocblas_rot_kernelIiLi512E19rocblas_complex_numIfEPS1_S2_S1_S1_EviT2_lllT3_lllT4_lT5_li: ; @_ZL18rocblas_rot_kernelIiLi512E19rocblas_complex_numIfEPS1_S2_S1_S1_EviT2_lllT3_lllT4_lT5_li
; %bb.0:
	s_clause 0x1
	s_load_b32 s3, s[0:1], 0x7c
	s_load_b32 s2, s[0:1], 0x0
	s_waitcnt lgkmcnt(0)
	s_and_b32 s3, s3, 0xffff
	s_delay_alu instid0(SALU_CYCLE_1)
	v_mad_u64_u32 v[1:2], null, s14, s3, v[0:1]
	v_mov_b32_e32 v2, 0
	s_ashr_i32 s3, s2, 31
	s_delay_alu instid0(VALU_DEP_1) | instid1(SALU_CYCLE_1)
	v_cmp_gt_i64_e32 vcc_lo, s[2:3], v[1:2]
	s_and_saveexec_b32 s2, vcc_lo
	s_cbranch_execz .LBB13_2
; %bb.1:
	s_load_b512 s[16:31], s[0:1], 0x8
	s_waitcnt lgkmcnt(0)
	v_mad_u64_u32 v[2:3], null, v1, s28, 0
	v_mad_u64_u32 v[4:5], null, v1, s20, 0
	s_mul_i32 s3, s15, s31
	s_mul_hi_u32 s4, s15, s30
	s_mul_i32 s2, s15, s30
	s_add_i32 s3, s4, s3
	s_delay_alu instid0(VALU_DEP_2) | instskip(SKIP_1) | instid1(VALU_DEP_2)
	v_mov_b32_e32 v0, v3
	s_lshl_b64 s[2:3], s[2:3], 3
	v_mov_b32_e32 v3, v5
	s_add_u32 s7, s24, s2
	s_addc_u32 s8, s25, s3
	v_mad_u64_u32 v[5:6], null, v1, s29, v[0:1]
	s_delay_alu instid0(VALU_DEP_2) | instskip(SKIP_4) | instid1(VALU_DEP_2)
	v_mad_u64_u32 v[6:7], null, v1, s21, v[3:4]
	s_lshl_b64 s[2:3], s[26:27], 3
	s_mul_i32 s5, s15, s23
	s_mul_hi_u32 s6, s15, s22
	s_add_u32 s7, s7, s2
	v_mov_b32_e32 v3, v5
	s_mul_i32 s4, s15, s22
	s_delay_alu instid0(VALU_DEP_2)
	v_mov_b32_e32 v5, v6
	s_addc_u32 s8, s8, s3
	s_add_i32 s5, s6, s5
	v_lshlrev_b64 v[0:1], 3, v[2:3]
	s_lshl_b64 s[2:3], s[4:5], 3
	v_lshlrev_b64 v[2:3], 3, v[4:5]
	s_add_u32 s4, s16, s2
	s_addc_u32 s5, s17, s3
	s_lshl_b64 s[2:3], s[18:19], 3
	v_add_co_u32 v0, vcc_lo, s7, v0
	s_add_u32 s2, s4, s2
	v_add_co_ci_u32_e32 v1, vcc_lo, s8, v1, vcc_lo
	s_addc_u32 s3, s5, s3
	v_add_co_u32 v2, vcc_lo, s2, v2
	v_add_co_ci_u32_e32 v3, vcc_lo, s3, v3, vcc_lo
	global_load_b64 v[4:5], v[0:1], off
	global_load_b64 v[6:7], v[2:3], off
	s_clause 0x1
	s_load_b64 s[2:3], s[0:1], 0x58
	s_load_b32 s0, s[0:1], 0x48
	s_waitcnt vmcnt(1) lgkmcnt(0)
	v_mul_f32_e32 v8, s3, v5
	s_waitcnt vmcnt(0)
	v_dual_mul_f32 v10, s3, v7 :: v_dual_mul_f32 v11, s3, v6
	v_mul_f32_e32 v9, s2, v5
	s_delay_alu instid0(VALU_DEP_3) | instskip(NEXT) | instid1(VALU_DEP_3)
	v_fma_f32 v8, s2, v4, -v8
	v_fmac_f32_e32 v10, s2, v6
	s_delay_alu instid0(VALU_DEP_4) | instskip(NEXT) | instid1(VALU_DEP_3)
	v_fma_f32 v11, s2, v7, -v11
	v_dual_fmac_f32 v9, s3, v4 :: v_dual_fmac_f32 v8, s0, v6
	s_delay_alu instid0(VALU_DEP_3) | instskip(NEXT) | instid1(VALU_DEP_3)
	v_fma_f32 v4, s0, v4, -v10
	v_fma_f32 v5, s0, v5, -v11
	s_delay_alu instid0(VALU_DEP_3)
	v_fmac_f32_e32 v9, s0, v7
	global_store_b64 v[0:1], v[4:5], off
	global_store_b64 v[2:3], v[8:9], off
.LBB13_2:
	s_nop 0
	s_sendmsg sendmsg(MSG_DEALLOC_VGPRS)
	s_endpgm
	.section	.rodata,"a",@progbits
	.p2align	6, 0x0
	.amdhsa_kernel _ZL18rocblas_rot_kernelIiLi512E19rocblas_complex_numIfEPS1_S2_S1_S1_EviT2_lllT3_lllT4_lT5_li
		.amdhsa_group_segment_fixed_size 0
		.amdhsa_private_segment_fixed_size 0
		.amdhsa_kernarg_size 368
		.amdhsa_user_sgpr_count 14
		.amdhsa_user_sgpr_dispatch_ptr 0
		.amdhsa_user_sgpr_queue_ptr 0
		.amdhsa_user_sgpr_kernarg_segment_ptr 1
		.amdhsa_user_sgpr_dispatch_id 0
		.amdhsa_user_sgpr_private_segment_size 0
		.amdhsa_wavefront_size32 1
		.amdhsa_uses_dynamic_stack 0
		.amdhsa_enable_private_segment 0
		.amdhsa_system_sgpr_workgroup_id_x 1
		.amdhsa_system_sgpr_workgroup_id_y 0
		.amdhsa_system_sgpr_workgroup_id_z 1
		.amdhsa_system_sgpr_workgroup_info 0
		.amdhsa_system_vgpr_workitem_id 0
		.amdhsa_next_free_vgpr 12
		.amdhsa_next_free_sgpr 32
		.amdhsa_reserve_vcc 1
		.amdhsa_float_round_mode_32 0
		.amdhsa_float_round_mode_16_64 0
		.amdhsa_float_denorm_mode_32 3
		.amdhsa_float_denorm_mode_16_64 3
		.amdhsa_dx10_clamp 1
		.amdhsa_ieee_mode 1
		.amdhsa_fp16_overflow 0
		.amdhsa_workgroup_processor_mode 1
		.amdhsa_memory_ordered 1
		.amdhsa_forward_progress 0
		.amdhsa_shared_vgpr_count 0
		.amdhsa_exception_fp_ieee_invalid_op 0
		.amdhsa_exception_fp_denorm_src 0
		.amdhsa_exception_fp_ieee_div_zero 0
		.amdhsa_exception_fp_ieee_overflow 0
		.amdhsa_exception_fp_ieee_underflow 0
		.amdhsa_exception_fp_ieee_inexact 0
		.amdhsa_exception_int_div_zero 0
	.end_amdhsa_kernel
	.section	.text._ZL18rocblas_rot_kernelIiLi512E19rocblas_complex_numIfEPS1_S2_S1_S1_EviT2_lllT3_lllT4_lT5_li,"axG",@progbits,_ZL18rocblas_rot_kernelIiLi512E19rocblas_complex_numIfEPS1_S2_S1_S1_EviT2_lllT3_lllT4_lT5_li,comdat
.Lfunc_end13:
	.size	_ZL18rocblas_rot_kernelIiLi512E19rocblas_complex_numIfEPS1_S2_S1_S1_EviT2_lllT3_lllT4_lT5_li, .Lfunc_end13-_ZL18rocblas_rot_kernelIiLi512E19rocblas_complex_numIfEPS1_S2_S1_S1_EviT2_lllT3_lllT4_lT5_li
                                        ; -- End function
	.section	.AMDGPU.csdata,"",@progbits
; Kernel info:
; codeLenInByte = 412
; NumSgprs: 34
; NumVgprs: 12
; ScratchSize: 0
; MemoryBound: 0
; FloatMode: 240
; IeeeMode: 1
; LDSByteSize: 0 bytes/workgroup (compile time only)
; SGPRBlocks: 4
; VGPRBlocks: 1
; NumSGPRsForWavesPerEU: 34
; NumVGPRsForWavesPerEU: 12
; Occupancy: 16
; WaveLimiterHint : 1
; COMPUTE_PGM_RSRC2:SCRATCH_EN: 0
; COMPUTE_PGM_RSRC2:USER_SGPR: 14
; COMPUTE_PGM_RSRC2:TRAP_HANDLER: 0
; COMPUTE_PGM_RSRC2:TGID_X_EN: 1
; COMPUTE_PGM_RSRC2:TGID_Y_EN: 0
; COMPUTE_PGM_RSRC2:TGID_Z_EN: 1
; COMPUTE_PGM_RSRC2:TIDIG_COMP_CNT: 0
	.section	.text._ZL18rocblas_rot_kernelIiLi512E19rocblas_complex_numIdEPS1_S2_PKdS4_EviT2_lllT3_lllT4_lT5_li,"axG",@progbits,_ZL18rocblas_rot_kernelIiLi512E19rocblas_complex_numIdEPS1_S2_PKdS4_EviT2_lllT3_lllT4_lT5_li,comdat
	.globl	_ZL18rocblas_rot_kernelIiLi512E19rocblas_complex_numIdEPS1_S2_PKdS4_EviT2_lllT3_lllT4_lT5_li ; -- Begin function _ZL18rocblas_rot_kernelIiLi512E19rocblas_complex_numIdEPS1_S2_PKdS4_EviT2_lllT3_lllT4_lT5_li
	.p2align	8
	.type	_ZL18rocblas_rot_kernelIiLi512E19rocblas_complex_numIdEPS1_S2_PKdS4_EviT2_lllT3_lllT4_lT5_li,@function
_ZL18rocblas_rot_kernelIiLi512E19rocblas_complex_numIdEPS1_S2_PKdS4_EviT2_lllT3_lllT4_lT5_li: ; @_ZL18rocblas_rot_kernelIiLi512E19rocblas_complex_numIdEPS1_S2_PKdS4_EviT2_lllT3_lllT4_lT5_li
; %bb.0:
	s_clause 0x1
	s_load_b32 s3, s[0:1], 0x7c
	s_load_b32 s2, s[0:1], 0x0
	s_waitcnt lgkmcnt(0)
	s_and_b32 s3, s3, 0xffff
	s_delay_alu instid0(SALU_CYCLE_1)
	v_mad_u64_u32 v[1:2], null, s14, s3, v[0:1]
	v_mov_b32_e32 v2, 0
	s_ashr_i32 s3, s2, 31
	s_delay_alu instid0(VALU_DEP_1) | instid1(SALU_CYCLE_1)
	v_cmp_gt_i64_e32 vcc_lo, s[2:3], v[1:2]
	s_and_saveexec_b32 s2, vcc_lo
	s_cbranch_execz .LBB14_2
; %bb.1:
	s_load_b512 s[16:31], s[0:1], 0x8
	s_waitcnt lgkmcnt(0)
	v_mad_u64_u32 v[2:3], null, v1, s28, 0
	v_mad_u64_u32 v[4:5], null, v1, s20, 0
	s_mul_i32 s3, s15, s31
	s_mul_hi_u32 s4, s15, s30
	s_mul_i32 s2, s15, s30
	s_add_i32 s3, s4, s3
	s_delay_alu instid0(VALU_DEP_2) | instskip(SKIP_1) | instid1(VALU_DEP_2)
	v_mov_b32_e32 v0, v3
	s_lshl_b64 s[2:3], s[2:3], 4
	v_mov_b32_e32 v3, v5
	s_add_u32 s7, s24, s2
	s_addc_u32 s8, s25, s3
	v_mad_u64_u32 v[5:6], null, v1, s29, v[0:1]
	s_delay_alu instid0(VALU_DEP_2) | instskip(SKIP_4) | instid1(VALU_DEP_2)
	v_mad_u64_u32 v[6:7], null, v1, s21, v[3:4]
	s_lshl_b64 s[2:3], s[26:27], 4
	s_mul_i32 s5, s15, s23
	s_mul_hi_u32 s6, s15, s22
	s_add_u32 s7, s7, s2
	v_mov_b32_e32 v3, v5
	s_mul_i32 s4, s15, s22
	s_delay_alu instid0(VALU_DEP_2)
	v_mov_b32_e32 v5, v6
	s_addc_u32 s8, s8, s3
	s_add_i32 s5, s6, s5
	v_lshlrev_b64 v[0:1], 4, v[2:3]
	s_lshl_b64 s[2:3], s[4:5], 4
	v_lshlrev_b64 v[2:3], 4, v[4:5]
	s_add_u32 s4, s16, s2
	s_addc_u32 s5, s17, s3
	s_lshl_b64 s[2:3], s[18:19], 4
	v_add_co_u32 v8, vcc_lo, s7, v0
	s_add_u32 s2, s4, s2
	v_add_co_ci_u32_e32 v9, vcc_lo, s8, v1, vcc_lo
	s_addc_u32 s3, s5, s3
	v_add_co_u32 v10, vcc_lo, s2, v2
	v_add_co_ci_u32_e32 v11, vcc_lo, s3, v3, vcc_lo
	global_load_b128 v[0:3], v[8:9], off
	global_load_b128 v[4:7], v[10:11], off
	s_load_b256 s[0:7], s[0:1], 0x48
	s_waitcnt lgkmcnt(0)
	s_mul_i32 s7, s15, s7
	s_mul_hi_u32 s8, s15, s6
	s_mul_i32 s6, s15, s6
	s_add_i32 s7, s8, s7
	s_mul_i32 s3, s15, s3
	s_lshl_b64 s[6:7], s[6:7], 3
	s_delay_alu instid0(SALU_CYCLE_1)
	s_add_u32 s4, s4, s6
	s_addc_u32 s5, s5, s7
	s_load_b64 s[4:5], s[4:5], 0x0
	s_waitcnt vmcnt(1) lgkmcnt(0)
	v_mul_f64 v[12:13], s[4:5], v[0:1]
	s_waitcnt vmcnt(0)
	v_mul_f64 v[14:15], s[4:5], v[4:5]
	v_mul_f64 v[16:17], s[4:5], v[6:7]
	;; [unrolled: 1-line block ×3, first 2 shown]
	s_mul_hi_u32 s4, s15, s2
	s_mul_i32 s2, s15, s2
	s_add_i32 s3, s4, s3
	s_delay_alu instid0(SALU_CYCLE_1) | instskip(NEXT) | instid1(SALU_CYCLE_1)
	s_lshl_b64 s[2:3], s[2:3], 3
	s_add_u32 s0, s0, s2
	s_addc_u32 s1, s1, s3
	s_load_b64 s[0:1], s[0:1], 0x0
	s_waitcnt lgkmcnt(0)
	s_delay_alu instid0(VALU_DEP_4) | instskip(NEXT) | instid1(VALU_DEP_4)
	v_fma_f64 v[4:5], s[0:1], v[4:5], v[12:13]
	v_fma_f64 v[0:1], s[0:1], v[0:1], -v[14:15]
	s_delay_alu instid0(VALU_DEP_4) | instskip(NEXT) | instid1(VALU_DEP_4)
	v_fma_f64 v[2:3], s[0:1], v[2:3], -v[16:17]
	v_fma_f64 v[6:7], s[0:1], v[6:7], v[18:19]
	global_store_b128 v[8:9], v[0:3], off
	global_store_b128 v[10:11], v[4:7], off
.LBB14_2:
	s_nop 0
	s_sendmsg sendmsg(MSG_DEALLOC_VGPRS)
	s_endpgm
	.section	.rodata,"a",@progbits
	.p2align	6, 0x0
	.amdhsa_kernel _ZL18rocblas_rot_kernelIiLi512E19rocblas_complex_numIdEPS1_S2_PKdS4_EviT2_lllT3_lllT4_lT5_li
		.amdhsa_group_segment_fixed_size 0
		.amdhsa_private_segment_fixed_size 0
		.amdhsa_kernarg_size 368
		.amdhsa_user_sgpr_count 14
		.amdhsa_user_sgpr_dispatch_ptr 0
		.amdhsa_user_sgpr_queue_ptr 0
		.amdhsa_user_sgpr_kernarg_segment_ptr 1
		.amdhsa_user_sgpr_dispatch_id 0
		.amdhsa_user_sgpr_private_segment_size 0
		.amdhsa_wavefront_size32 1
		.amdhsa_uses_dynamic_stack 0
		.amdhsa_enable_private_segment 0
		.amdhsa_system_sgpr_workgroup_id_x 1
		.amdhsa_system_sgpr_workgroup_id_y 0
		.amdhsa_system_sgpr_workgroup_id_z 1
		.amdhsa_system_sgpr_workgroup_info 0
		.amdhsa_system_vgpr_workitem_id 0
		.amdhsa_next_free_vgpr 20
		.amdhsa_next_free_sgpr 32
		.amdhsa_reserve_vcc 1
		.amdhsa_float_round_mode_32 0
		.amdhsa_float_round_mode_16_64 0
		.amdhsa_float_denorm_mode_32 3
		.amdhsa_float_denorm_mode_16_64 3
		.amdhsa_dx10_clamp 1
		.amdhsa_ieee_mode 1
		.amdhsa_fp16_overflow 0
		.amdhsa_workgroup_processor_mode 1
		.amdhsa_memory_ordered 1
		.amdhsa_forward_progress 0
		.amdhsa_shared_vgpr_count 0
		.amdhsa_exception_fp_ieee_invalid_op 0
		.amdhsa_exception_fp_denorm_src 0
		.amdhsa_exception_fp_ieee_div_zero 0
		.amdhsa_exception_fp_ieee_overflow 0
		.amdhsa_exception_fp_ieee_underflow 0
		.amdhsa_exception_fp_ieee_inexact 0
		.amdhsa_exception_int_div_zero 0
	.end_amdhsa_kernel
	.section	.text._ZL18rocblas_rot_kernelIiLi512E19rocblas_complex_numIdEPS1_S2_PKdS4_EviT2_lllT3_lllT4_lT5_li,"axG",@progbits,_ZL18rocblas_rot_kernelIiLi512E19rocblas_complex_numIdEPS1_S2_PKdS4_EviT2_lllT3_lllT4_lT5_li,comdat
.Lfunc_end14:
	.size	_ZL18rocblas_rot_kernelIiLi512E19rocblas_complex_numIdEPS1_S2_PKdS4_EviT2_lllT3_lllT4_lT5_li, .Lfunc_end14-_ZL18rocblas_rot_kernelIiLi512E19rocblas_complex_numIdEPS1_S2_PKdS4_EviT2_lllT3_lllT4_lT5_li
                                        ; -- End function
	.section	.AMDGPU.csdata,"",@progbits
; Kernel info:
; codeLenInByte = 480
; NumSgprs: 34
; NumVgprs: 20
; ScratchSize: 0
; MemoryBound: 0
; FloatMode: 240
; IeeeMode: 1
; LDSByteSize: 0 bytes/workgroup (compile time only)
; SGPRBlocks: 4
; VGPRBlocks: 2
; NumSGPRsForWavesPerEU: 34
; NumVGPRsForWavesPerEU: 20
; Occupancy: 16
; WaveLimiterHint : 0
; COMPUTE_PGM_RSRC2:SCRATCH_EN: 0
; COMPUTE_PGM_RSRC2:USER_SGPR: 14
; COMPUTE_PGM_RSRC2:TRAP_HANDLER: 0
; COMPUTE_PGM_RSRC2:TGID_X_EN: 1
; COMPUTE_PGM_RSRC2:TGID_Y_EN: 0
; COMPUTE_PGM_RSRC2:TGID_Z_EN: 1
; COMPUTE_PGM_RSRC2:TIDIG_COMP_CNT: 0
	.section	.text._ZL18rocblas_rot_kernelIiLi512E19rocblas_complex_numIdEPS1_S2_ddEviT2_lllT3_lllT4_lT5_li,"axG",@progbits,_ZL18rocblas_rot_kernelIiLi512E19rocblas_complex_numIdEPS1_S2_ddEviT2_lllT3_lllT4_lT5_li,comdat
	.globl	_ZL18rocblas_rot_kernelIiLi512E19rocblas_complex_numIdEPS1_S2_ddEviT2_lllT3_lllT4_lT5_li ; -- Begin function _ZL18rocblas_rot_kernelIiLi512E19rocblas_complex_numIdEPS1_S2_ddEviT2_lllT3_lllT4_lT5_li
	.p2align	8
	.type	_ZL18rocblas_rot_kernelIiLi512E19rocblas_complex_numIdEPS1_S2_ddEviT2_lllT3_lllT4_lT5_li,@function
_ZL18rocblas_rot_kernelIiLi512E19rocblas_complex_numIdEPS1_S2_ddEviT2_lllT3_lllT4_lT5_li: ; @_ZL18rocblas_rot_kernelIiLi512E19rocblas_complex_numIdEPS1_S2_ddEviT2_lllT3_lllT4_lT5_li
; %bb.0:
	s_clause 0x1
	s_load_b32 s3, s[0:1], 0x7c
	s_load_b32 s2, s[0:1], 0x0
	s_waitcnt lgkmcnt(0)
	s_and_b32 s3, s3, 0xffff
	s_delay_alu instid0(SALU_CYCLE_1)
	v_mad_u64_u32 v[1:2], null, s14, s3, v[0:1]
	v_mov_b32_e32 v2, 0
	s_ashr_i32 s3, s2, 31
	s_delay_alu instid0(VALU_DEP_1) | instid1(SALU_CYCLE_1)
	v_cmp_gt_i64_e32 vcc_lo, s[2:3], v[1:2]
	s_and_saveexec_b32 s2, vcc_lo
	s_cbranch_execz .LBB15_2
; %bb.1:
	s_load_b512 s[16:31], s[0:1], 0x8
	s_waitcnt lgkmcnt(0)
	v_mad_u64_u32 v[2:3], null, v1, s28, 0
	v_mad_u64_u32 v[4:5], null, v1, s20, 0
	s_mul_i32 s3, s15, s31
	s_mul_hi_u32 s4, s15, s30
	s_mul_i32 s2, s15, s30
	s_add_i32 s3, s4, s3
	s_delay_alu instid0(VALU_DEP_2) | instskip(SKIP_1) | instid1(VALU_DEP_2)
	v_mov_b32_e32 v0, v3
	s_lshl_b64 s[2:3], s[2:3], 4
	v_mov_b32_e32 v3, v5
	s_add_u32 s7, s24, s2
	s_addc_u32 s8, s25, s3
	v_mad_u64_u32 v[5:6], null, v1, s29, v[0:1]
	s_delay_alu instid0(VALU_DEP_2) | instskip(SKIP_4) | instid1(VALU_DEP_2)
	v_mad_u64_u32 v[6:7], null, v1, s21, v[3:4]
	s_lshl_b64 s[2:3], s[26:27], 4
	s_mul_i32 s5, s15, s23
	s_mul_hi_u32 s6, s15, s22
	s_add_u32 s7, s7, s2
	v_mov_b32_e32 v3, v5
	s_mul_i32 s4, s15, s22
	s_delay_alu instid0(VALU_DEP_2)
	v_mov_b32_e32 v5, v6
	s_addc_u32 s8, s8, s3
	s_add_i32 s5, s6, s5
	v_lshlrev_b64 v[0:1], 4, v[2:3]
	s_lshl_b64 s[2:3], s[4:5], 4
	v_lshlrev_b64 v[2:3], 4, v[4:5]
	s_add_u32 s4, s16, s2
	s_addc_u32 s5, s17, s3
	s_lshl_b64 s[2:3], s[18:19], 4
	v_add_co_u32 v8, vcc_lo, s7, v0
	s_add_u32 s2, s4, s2
	v_add_co_ci_u32_e32 v9, vcc_lo, s8, v1, vcc_lo
	s_addc_u32 s3, s5, s3
	v_add_co_u32 v10, vcc_lo, s2, v2
	v_add_co_ci_u32_e32 v11, vcc_lo, s3, v3, vcc_lo
	global_load_b128 v[0:3], v[8:9], off
	global_load_b128 v[4:7], v[10:11], off
	s_clause 0x1
	s_load_b64 s[2:3], s[0:1], 0x58
	s_load_b64 s[0:1], s[0:1], 0x48
	s_waitcnt vmcnt(1) lgkmcnt(0)
	v_mul_f64 v[12:13], v[0:1], s[2:3]
	s_waitcnt vmcnt(0)
	v_mul_f64 v[14:15], v[4:5], s[2:3]
	v_mul_f64 v[16:17], v[6:7], s[2:3]
	;; [unrolled: 1-line block ×3, first 2 shown]
	s_delay_alu instid0(VALU_DEP_4) | instskip(NEXT) | instid1(VALU_DEP_4)
	v_fma_f64 v[4:5], v[4:5], s[0:1], v[12:13]
	v_fma_f64 v[0:1], v[0:1], s[0:1], -v[14:15]
	s_delay_alu instid0(VALU_DEP_4) | instskip(NEXT) | instid1(VALU_DEP_4)
	v_fma_f64 v[2:3], v[2:3], s[0:1], -v[16:17]
	v_fma_f64 v[6:7], v[6:7], s[0:1], v[18:19]
	global_store_b128 v[8:9], v[0:3], off
	global_store_b128 v[10:11], v[4:7], off
.LBB15_2:
	s_nop 0
	s_sendmsg sendmsg(MSG_DEALLOC_VGPRS)
	s_endpgm
	.section	.rodata,"a",@progbits
	.p2align	6, 0x0
	.amdhsa_kernel _ZL18rocblas_rot_kernelIiLi512E19rocblas_complex_numIdEPS1_S2_ddEviT2_lllT3_lllT4_lT5_li
		.amdhsa_group_segment_fixed_size 0
		.amdhsa_private_segment_fixed_size 0
		.amdhsa_kernarg_size 368
		.amdhsa_user_sgpr_count 14
		.amdhsa_user_sgpr_dispatch_ptr 0
		.amdhsa_user_sgpr_queue_ptr 0
		.amdhsa_user_sgpr_kernarg_segment_ptr 1
		.amdhsa_user_sgpr_dispatch_id 0
		.amdhsa_user_sgpr_private_segment_size 0
		.amdhsa_wavefront_size32 1
		.amdhsa_uses_dynamic_stack 0
		.amdhsa_enable_private_segment 0
		.amdhsa_system_sgpr_workgroup_id_x 1
		.amdhsa_system_sgpr_workgroup_id_y 0
		.amdhsa_system_sgpr_workgroup_id_z 1
		.amdhsa_system_sgpr_workgroup_info 0
		.amdhsa_system_vgpr_workitem_id 0
		.amdhsa_next_free_vgpr 20
		.amdhsa_next_free_sgpr 32
		.amdhsa_reserve_vcc 1
		.amdhsa_float_round_mode_32 0
		.amdhsa_float_round_mode_16_64 0
		.amdhsa_float_denorm_mode_32 3
		.amdhsa_float_denorm_mode_16_64 3
		.amdhsa_dx10_clamp 1
		.amdhsa_ieee_mode 1
		.amdhsa_fp16_overflow 0
		.amdhsa_workgroup_processor_mode 1
		.amdhsa_memory_ordered 1
		.amdhsa_forward_progress 0
		.amdhsa_shared_vgpr_count 0
		.amdhsa_exception_fp_ieee_invalid_op 0
		.amdhsa_exception_fp_denorm_src 0
		.amdhsa_exception_fp_ieee_div_zero 0
		.amdhsa_exception_fp_ieee_overflow 0
		.amdhsa_exception_fp_ieee_underflow 0
		.amdhsa_exception_fp_ieee_inexact 0
		.amdhsa_exception_int_div_zero 0
	.end_amdhsa_kernel
	.section	.text._ZL18rocblas_rot_kernelIiLi512E19rocblas_complex_numIdEPS1_S2_ddEviT2_lllT3_lllT4_lT5_li,"axG",@progbits,_ZL18rocblas_rot_kernelIiLi512E19rocblas_complex_numIdEPS1_S2_ddEviT2_lllT3_lllT4_lT5_li,comdat
.Lfunc_end15:
	.size	_ZL18rocblas_rot_kernelIiLi512E19rocblas_complex_numIdEPS1_S2_ddEviT2_lllT3_lllT4_lT5_li, .Lfunc_end15-_ZL18rocblas_rot_kernelIiLi512E19rocblas_complex_numIdEPS1_S2_ddEviT2_lllT3_lllT4_lT5_li
                                        ; -- End function
	.section	.AMDGPU.csdata,"",@progbits
; Kernel info:
; codeLenInByte = 404
; NumSgprs: 34
; NumVgprs: 20
; ScratchSize: 0
; MemoryBound: 0
; FloatMode: 240
; IeeeMode: 1
; LDSByteSize: 0 bytes/workgroup (compile time only)
; SGPRBlocks: 4
; VGPRBlocks: 2
; NumSGPRsForWavesPerEU: 34
; NumVGPRsForWavesPerEU: 20
; Occupancy: 16
; WaveLimiterHint : 0
; COMPUTE_PGM_RSRC2:SCRATCH_EN: 0
; COMPUTE_PGM_RSRC2:USER_SGPR: 14
; COMPUTE_PGM_RSRC2:TRAP_HANDLER: 0
; COMPUTE_PGM_RSRC2:TGID_X_EN: 1
; COMPUTE_PGM_RSRC2:TGID_Y_EN: 0
; COMPUTE_PGM_RSRC2:TGID_Z_EN: 1
; COMPUTE_PGM_RSRC2:TIDIG_COMP_CNT: 0
	.section	.text._ZL18rocblas_rot_kernelIiLi512E19rocblas_complex_numIdEPS1_S2_PKdPKS1_EviT2_lllT3_lllT4_lT5_li,"axG",@progbits,_ZL18rocblas_rot_kernelIiLi512E19rocblas_complex_numIdEPS1_S2_PKdPKS1_EviT2_lllT3_lllT4_lT5_li,comdat
	.globl	_ZL18rocblas_rot_kernelIiLi512E19rocblas_complex_numIdEPS1_S2_PKdPKS1_EviT2_lllT3_lllT4_lT5_li ; -- Begin function _ZL18rocblas_rot_kernelIiLi512E19rocblas_complex_numIdEPS1_S2_PKdPKS1_EviT2_lllT3_lllT4_lT5_li
	.p2align	8
	.type	_ZL18rocblas_rot_kernelIiLi512E19rocblas_complex_numIdEPS1_S2_PKdPKS1_EviT2_lllT3_lllT4_lT5_li,@function
_ZL18rocblas_rot_kernelIiLi512E19rocblas_complex_numIdEPS1_S2_PKdPKS1_EviT2_lllT3_lllT4_lT5_li: ; @_ZL18rocblas_rot_kernelIiLi512E19rocblas_complex_numIdEPS1_S2_PKdPKS1_EviT2_lllT3_lllT4_lT5_li
; %bb.0:
	s_clause 0x1
	s_load_b32 s3, s[0:1], 0x7c
	s_load_b32 s2, s[0:1], 0x0
	s_waitcnt lgkmcnt(0)
	s_and_b32 s3, s3, 0xffff
	s_delay_alu instid0(SALU_CYCLE_1)
	v_mad_u64_u32 v[1:2], null, s14, s3, v[0:1]
	v_mov_b32_e32 v2, 0
	s_ashr_i32 s3, s2, 31
	s_delay_alu instid0(VALU_DEP_1) | instid1(SALU_CYCLE_1)
	v_cmp_gt_i64_e32 vcc_lo, s[2:3], v[1:2]
	s_and_saveexec_b32 s2, vcc_lo
	s_cbranch_execz .LBB16_2
; %bb.1:
	s_load_b512 s[16:31], s[0:1], 0x8
	s_waitcnt lgkmcnt(0)
	v_mad_u64_u32 v[2:3], null, v1, s28, 0
	v_mad_u64_u32 v[4:5], null, v1, s20, 0
	s_mul_i32 s3, s15, s31
	s_mul_hi_u32 s4, s15, s30
	s_mul_i32 s2, s15, s30
	s_add_i32 s3, s4, s3
	s_delay_alu instid0(VALU_DEP_2) | instskip(SKIP_1) | instid1(VALU_DEP_2)
	v_mov_b32_e32 v0, v3
	s_lshl_b64 s[2:3], s[2:3], 4
	v_mov_b32_e32 v3, v5
	s_add_u32 s7, s24, s2
	s_addc_u32 s8, s25, s3
	v_mad_u64_u32 v[5:6], null, v1, s29, v[0:1]
	s_delay_alu instid0(VALU_DEP_2) | instskip(SKIP_4) | instid1(VALU_DEP_2)
	v_mad_u64_u32 v[6:7], null, v1, s21, v[3:4]
	s_lshl_b64 s[2:3], s[26:27], 4
	s_mul_i32 s5, s15, s23
	s_mul_hi_u32 s6, s15, s22
	s_add_u32 s7, s7, s2
	v_mov_b32_e32 v3, v5
	s_mul_i32 s4, s15, s22
	s_delay_alu instid0(VALU_DEP_2)
	v_mov_b32_e32 v5, v6
	s_addc_u32 s8, s8, s3
	s_add_i32 s5, s6, s5
	v_lshlrev_b64 v[0:1], 4, v[2:3]
	s_lshl_b64 s[2:3], s[4:5], 4
	v_lshlrev_b64 v[2:3], 4, v[4:5]
	s_add_u32 s4, s16, s2
	s_addc_u32 s5, s17, s3
	s_lshl_b64 s[2:3], s[18:19], 4
	v_add_co_u32 v8, vcc_lo, s7, v0
	s_add_u32 s2, s4, s2
	v_add_co_ci_u32_e32 v9, vcc_lo, s8, v1, vcc_lo
	s_addc_u32 s3, s5, s3
	v_add_co_u32 v10, vcc_lo, s2, v2
	v_add_co_ci_u32_e32 v11, vcc_lo, s3, v3, vcc_lo
	global_load_b128 v[0:3], v[8:9], off
	global_load_b128 v[4:7], v[10:11], off
	s_load_b256 s[0:7], s[0:1], 0x48
	s_waitcnt lgkmcnt(0)
	s_mul_i32 s7, s15, s7
	s_mul_hi_u32 s8, s15, s6
	s_mul_i32 s6, s15, s6
	s_add_i32 s7, s8, s7
	s_mul_i32 s3, s15, s3
	s_lshl_b64 s[6:7], s[6:7], 4
	s_delay_alu instid0(SALU_CYCLE_1)
	s_add_u32 s4, s4, s6
	s_addc_u32 s5, s5, s7
	s_load_b128 s[4:7], s[4:5], 0x0
	s_waitcnt vmcnt(1) lgkmcnt(0)
	v_mul_f64 v[12:13], s[6:7], v[2:3]
	s_waitcnt vmcnt(0)
	v_mul_f64 v[14:15], s[6:7], v[6:7]
	v_mul_f64 v[16:17], s[6:7], v[4:5]
	;; [unrolled: 1-line block ×3, first 2 shown]
	s_delay_alu instid0(VALU_DEP_4) | instskip(NEXT) | instid1(VALU_DEP_4)
	v_fma_f64 v[12:13], s[4:5], v[0:1], -v[12:13]
	v_fma_f64 v[14:15], s[4:5], v[4:5], v[14:15]
	s_delay_alu instid0(VALU_DEP_4) | instskip(NEXT) | instid1(VALU_DEP_4)
	v_fma_f64 v[16:17], s[4:5], v[6:7], -v[16:17]
	v_fma_f64 v[18:19], s[6:7], v[0:1], v[18:19]
	s_mul_hi_u32 s4, s15, s2
	s_mul_i32 s2, s15, s2
	s_add_i32 s3, s4, s3
	s_delay_alu instid0(SALU_CYCLE_1) | instskip(NEXT) | instid1(SALU_CYCLE_1)
	s_lshl_b64 s[2:3], s[2:3], 3
	s_add_u32 s0, s0, s2
	s_addc_u32 s1, s1, s3
	s_load_b64 s[0:1], s[0:1], 0x0
	s_waitcnt lgkmcnt(0)
	s_delay_alu instid0(VALU_DEP_4) | instskip(NEXT) | instid1(VALU_DEP_4)
	v_fma_f64 v[4:5], s[0:1], v[4:5], v[12:13]
	v_fma_f64 v[0:1], s[0:1], v[0:1], -v[14:15]
	s_delay_alu instid0(VALU_DEP_4) | instskip(NEXT) | instid1(VALU_DEP_4)
	v_fma_f64 v[2:3], s[0:1], v[2:3], -v[16:17]
	v_fma_f64 v[6:7], s[0:1], v[6:7], v[18:19]
	global_store_b128 v[8:9], v[0:3], off
	global_store_b128 v[10:11], v[4:7], off
.LBB16_2:
	s_nop 0
	s_sendmsg sendmsg(MSG_DEALLOC_VGPRS)
	s_endpgm
	.section	.rodata,"a",@progbits
	.p2align	6, 0x0
	.amdhsa_kernel _ZL18rocblas_rot_kernelIiLi512E19rocblas_complex_numIdEPS1_S2_PKdPKS1_EviT2_lllT3_lllT4_lT5_li
		.amdhsa_group_segment_fixed_size 0
		.amdhsa_private_segment_fixed_size 0
		.amdhsa_kernarg_size 368
		.amdhsa_user_sgpr_count 14
		.amdhsa_user_sgpr_dispatch_ptr 0
		.amdhsa_user_sgpr_queue_ptr 0
		.amdhsa_user_sgpr_kernarg_segment_ptr 1
		.amdhsa_user_sgpr_dispatch_id 0
		.amdhsa_user_sgpr_private_segment_size 0
		.amdhsa_wavefront_size32 1
		.amdhsa_uses_dynamic_stack 0
		.amdhsa_enable_private_segment 0
		.amdhsa_system_sgpr_workgroup_id_x 1
		.amdhsa_system_sgpr_workgroup_id_y 0
		.amdhsa_system_sgpr_workgroup_id_z 1
		.amdhsa_system_sgpr_workgroup_info 0
		.amdhsa_system_vgpr_workitem_id 0
		.amdhsa_next_free_vgpr 20
		.amdhsa_next_free_sgpr 32
		.amdhsa_reserve_vcc 1
		.amdhsa_float_round_mode_32 0
		.amdhsa_float_round_mode_16_64 0
		.amdhsa_float_denorm_mode_32 3
		.amdhsa_float_denorm_mode_16_64 3
		.amdhsa_dx10_clamp 1
		.amdhsa_ieee_mode 1
		.amdhsa_fp16_overflow 0
		.amdhsa_workgroup_processor_mode 1
		.amdhsa_memory_ordered 1
		.amdhsa_forward_progress 0
		.amdhsa_shared_vgpr_count 0
		.amdhsa_exception_fp_ieee_invalid_op 0
		.amdhsa_exception_fp_denorm_src 0
		.amdhsa_exception_fp_ieee_div_zero 0
		.amdhsa_exception_fp_ieee_overflow 0
		.amdhsa_exception_fp_ieee_underflow 0
		.amdhsa_exception_fp_ieee_inexact 0
		.amdhsa_exception_int_div_zero 0
	.end_amdhsa_kernel
	.section	.text._ZL18rocblas_rot_kernelIiLi512E19rocblas_complex_numIdEPS1_S2_PKdPKS1_EviT2_lllT3_lllT4_lT5_li,"axG",@progbits,_ZL18rocblas_rot_kernelIiLi512E19rocblas_complex_numIdEPS1_S2_PKdPKS1_EviT2_lllT3_lllT4_lT5_li,comdat
.Lfunc_end16:
	.size	_ZL18rocblas_rot_kernelIiLi512E19rocblas_complex_numIdEPS1_S2_PKdPKS1_EviT2_lllT3_lllT4_lT5_li, .Lfunc_end16-_ZL18rocblas_rot_kernelIiLi512E19rocblas_complex_numIdEPS1_S2_PKdPKS1_EviT2_lllT3_lllT4_lT5_li
                                        ; -- End function
	.section	.AMDGPU.csdata,"",@progbits
; Kernel info:
; codeLenInByte = 520
; NumSgprs: 34
; NumVgprs: 20
; ScratchSize: 0
; MemoryBound: 0
; FloatMode: 240
; IeeeMode: 1
; LDSByteSize: 0 bytes/workgroup (compile time only)
; SGPRBlocks: 4
; VGPRBlocks: 2
; NumSGPRsForWavesPerEU: 34
; NumVGPRsForWavesPerEU: 20
; Occupancy: 16
; WaveLimiterHint : 0
; COMPUTE_PGM_RSRC2:SCRATCH_EN: 0
; COMPUTE_PGM_RSRC2:USER_SGPR: 14
; COMPUTE_PGM_RSRC2:TRAP_HANDLER: 0
; COMPUTE_PGM_RSRC2:TGID_X_EN: 1
; COMPUTE_PGM_RSRC2:TGID_Y_EN: 0
; COMPUTE_PGM_RSRC2:TGID_Z_EN: 1
; COMPUTE_PGM_RSRC2:TIDIG_COMP_CNT: 0
	.section	.text._ZL18rocblas_rot_kernelIiLi512E19rocblas_complex_numIdEPS1_S2_dS1_EviT2_lllT3_lllT4_lT5_li,"axG",@progbits,_ZL18rocblas_rot_kernelIiLi512E19rocblas_complex_numIdEPS1_S2_dS1_EviT2_lllT3_lllT4_lT5_li,comdat
	.globl	_ZL18rocblas_rot_kernelIiLi512E19rocblas_complex_numIdEPS1_S2_dS1_EviT2_lllT3_lllT4_lT5_li ; -- Begin function _ZL18rocblas_rot_kernelIiLi512E19rocblas_complex_numIdEPS1_S2_dS1_EviT2_lllT3_lllT4_lT5_li
	.p2align	8
	.type	_ZL18rocblas_rot_kernelIiLi512E19rocblas_complex_numIdEPS1_S2_dS1_EviT2_lllT3_lllT4_lT5_li,@function
_ZL18rocblas_rot_kernelIiLi512E19rocblas_complex_numIdEPS1_S2_dS1_EviT2_lllT3_lllT4_lT5_li: ; @_ZL18rocblas_rot_kernelIiLi512E19rocblas_complex_numIdEPS1_S2_dS1_EviT2_lllT3_lllT4_lT5_li
; %bb.0:
	s_clause 0x1
	s_load_b32 s3, s[0:1], 0x84
	s_load_b32 s2, s[0:1], 0x0
	s_waitcnt lgkmcnt(0)
	s_and_b32 s3, s3, 0xffff
	s_delay_alu instid0(SALU_CYCLE_1)
	v_mad_u64_u32 v[1:2], null, s14, s3, v[0:1]
	v_mov_b32_e32 v2, 0
	s_ashr_i32 s3, s2, 31
	s_delay_alu instid0(VALU_DEP_1) | instid1(SALU_CYCLE_1)
	v_cmp_gt_i64_e32 vcc_lo, s[2:3], v[1:2]
	s_and_saveexec_b32 s2, vcc_lo
	s_cbranch_execz .LBB17_2
; %bb.1:
	s_load_b512 s[16:31], s[0:1], 0x8
	s_waitcnt lgkmcnt(0)
	v_mad_u64_u32 v[2:3], null, v1, s28, 0
	v_mad_u64_u32 v[4:5], null, v1, s20, 0
	s_mul_i32 s3, s15, s31
	s_mul_hi_u32 s4, s15, s30
	s_mul_i32 s2, s15, s30
	s_add_i32 s3, s4, s3
	s_delay_alu instid0(VALU_DEP_2) | instskip(SKIP_1) | instid1(VALU_DEP_2)
	v_mov_b32_e32 v0, v3
	s_lshl_b64 s[2:3], s[2:3], 4
	v_mov_b32_e32 v3, v5
	s_add_u32 s7, s24, s2
	s_addc_u32 s8, s25, s3
	v_mad_u64_u32 v[5:6], null, v1, s29, v[0:1]
	s_delay_alu instid0(VALU_DEP_2) | instskip(SKIP_4) | instid1(VALU_DEP_2)
	v_mad_u64_u32 v[6:7], null, v1, s21, v[3:4]
	s_lshl_b64 s[2:3], s[26:27], 4
	s_mul_i32 s5, s15, s23
	s_mul_hi_u32 s6, s15, s22
	s_add_u32 s7, s7, s2
	v_mov_b32_e32 v3, v5
	s_mul_i32 s4, s15, s22
	s_delay_alu instid0(VALU_DEP_2)
	v_mov_b32_e32 v5, v6
	s_addc_u32 s8, s8, s3
	s_add_i32 s5, s6, s5
	v_lshlrev_b64 v[0:1], 4, v[2:3]
	s_lshl_b64 s[2:3], s[4:5], 4
	v_lshlrev_b64 v[2:3], 4, v[4:5]
	s_add_u32 s4, s16, s2
	s_addc_u32 s5, s17, s3
	s_lshl_b64 s[2:3], s[18:19], 4
	v_add_co_u32 v8, vcc_lo, s7, v0
	s_add_u32 s2, s4, s2
	v_add_co_ci_u32_e32 v9, vcc_lo, s8, v1, vcc_lo
	s_addc_u32 s3, s5, s3
	v_add_co_u32 v10, vcc_lo, s2, v2
	v_add_co_ci_u32_e32 v11, vcc_lo, s3, v3, vcc_lo
	global_load_b128 v[0:3], v[8:9], off
	global_load_b128 v[4:7], v[10:11], off
	s_clause 0x1
	s_load_b128 s[4:7], s[0:1], 0x58
	s_load_b64 s[0:1], s[0:1], 0x48
	s_waitcnt vmcnt(1) lgkmcnt(0)
	v_mul_f64 v[12:13], s[6:7], v[2:3]
	s_waitcnt vmcnt(0)
	v_mul_f64 v[14:15], s[6:7], v[6:7]
	v_mul_f64 v[16:17], s[6:7], v[4:5]
	;; [unrolled: 1-line block ×3, first 2 shown]
	s_delay_alu instid0(VALU_DEP_4) | instskip(NEXT) | instid1(VALU_DEP_4)
	v_fma_f64 v[12:13], s[4:5], v[0:1], -v[12:13]
	v_fma_f64 v[14:15], s[4:5], v[4:5], v[14:15]
	s_delay_alu instid0(VALU_DEP_4) | instskip(NEXT) | instid1(VALU_DEP_4)
	v_fma_f64 v[16:17], s[4:5], v[6:7], -v[16:17]
	v_fma_f64 v[18:19], s[6:7], v[0:1], v[18:19]
	s_delay_alu instid0(VALU_DEP_4) | instskip(NEXT) | instid1(VALU_DEP_4)
	v_fma_f64 v[4:5], v[4:5], s[0:1], v[12:13]
	v_fma_f64 v[0:1], v[0:1], s[0:1], -v[14:15]
	s_delay_alu instid0(VALU_DEP_4) | instskip(NEXT) | instid1(VALU_DEP_4)
	v_fma_f64 v[2:3], v[2:3], s[0:1], -v[16:17]
	v_fma_f64 v[6:7], v[6:7], s[0:1], v[18:19]
	global_store_b128 v[8:9], v[0:3], off
	global_store_b128 v[10:11], v[4:7], off
.LBB17_2:
	s_nop 0
	s_sendmsg sendmsg(MSG_DEALLOC_VGPRS)
	s_endpgm
	.section	.rodata,"a",@progbits
	.p2align	6, 0x0
	.amdhsa_kernel _ZL18rocblas_rot_kernelIiLi512E19rocblas_complex_numIdEPS1_S2_dS1_EviT2_lllT3_lllT4_lT5_li
		.amdhsa_group_segment_fixed_size 0
		.amdhsa_private_segment_fixed_size 0
		.amdhsa_kernarg_size 376
		.amdhsa_user_sgpr_count 14
		.amdhsa_user_sgpr_dispatch_ptr 0
		.amdhsa_user_sgpr_queue_ptr 0
		.amdhsa_user_sgpr_kernarg_segment_ptr 1
		.amdhsa_user_sgpr_dispatch_id 0
		.amdhsa_user_sgpr_private_segment_size 0
		.amdhsa_wavefront_size32 1
		.amdhsa_uses_dynamic_stack 0
		.amdhsa_enable_private_segment 0
		.amdhsa_system_sgpr_workgroup_id_x 1
		.amdhsa_system_sgpr_workgroup_id_y 0
		.amdhsa_system_sgpr_workgroup_id_z 1
		.amdhsa_system_sgpr_workgroup_info 0
		.amdhsa_system_vgpr_workitem_id 0
		.amdhsa_next_free_vgpr 20
		.amdhsa_next_free_sgpr 32
		.amdhsa_reserve_vcc 1
		.amdhsa_float_round_mode_32 0
		.amdhsa_float_round_mode_16_64 0
		.amdhsa_float_denorm_mode_32 3
		.amdhsa_float_denorm_mode_16_64 3
		.amdhsa_dx10_clamp 1
		.amdhsa_ieee_mode 1
		.amdhsa_fp16_overflow 0
		.amdhsa_workgroup_processor_mode 1
		.amdhsa_memory_ordered 1
		.amdhsa_forward_progress 0
		.amdhsa_shared_vgpr_count 0
		.amdhsa_exception_fp_ieee_invalid_op 0
		.amdhsa_exception_fp_denorm_src 0
		.amdhsa_exception_fp_ieee_div_zero 0
		.amdhsa_exception_fp_ieee_overflow 0
		.amdhsa_exception_fp_ieee_underflow 0
		.amdhsa_exception_fp_ieee_inexact 0
		.amdhsa_exception_int_div_zero 0
	.end_amdhsa_kernel
	.section	.text._ZL18rocblas_rot_kernelIiLi512E19rocblas_complex_numIdEPS1_S2_dS1_EviT2_lllT3_lllT4_lT5_li,"axG",@progbits,_ZL18rocblas_rot_kernelIiLi512E19rocblas_complex_numIdEPS1_S2_dS1_EviT2_lllT3_lllT4_lT5_li,comdat
.Lfunc_end17:
	.size	_ZL18rocblas_rot_kernelIiLi512E19rocblas_complex_numIdEPS1_S2_dS1_EviT2_lllT3_lllT4_lT5_li, .Lfunc_end17-_ZL18rocblas_rot_kernelIiLi512E19rocblas_complex_numIdEPS1_S2_dS1_EviT2_lllT3_lllT4_lT5_li
                                        ; -- End function
	.section	.AMDGPU.csdata,"",@progbits
; Kernel info:
; codeLenInByte = 444
; NumSgprs: 34
; NumVgprs: 20
; ScratchSize: 0
; MemoryBound: 0
; FloatMode: 240
; IeeeMode: 1
; LDSByteSize: 0 bytes/workgroup (compile time only)
; SGPRBlocks: 4
; VGPRBlocks: 2
; NumSGPRsForWavesPerEU: 34
; NumVGPRsForWavesPerEU: 20
; Occupancy: 16
; WaveLimiterHint : 0
; COMPUTE_PGM_RSRC2:SCRATCH_EN: 0
; COMPUTE_PGM_RSRC2:USER_SGPR: 14
; COMPUTE_PGM_RSRC2:TRAP_HANDLER: 0
; COMPUTE_PGM_RSRC2:TGID_X_EN: 1
; COMPUTE_PGM_RSRC2:TGID_Y_EN: 0
; COMPUTE_PGM_RSRC2:TGID_Z_EN: 1
; COMPUTE_PGM_RSRC2:TIDIG_COMP_CNT: 0
	.section	.text._ZL18rocblas_rot_kernelIiLi512E19rocblas_complex_numIdEPS1_S2_PKS1_S4_EviT2_lllT3_lllT4_lT5_li,"axG",@progbits,_ZL18rocblas_rot_kernelIiLi512E19rocblas_complex_numIdEPS1_S2_PKS1_S4_EviT2_lllT3_lllT4_lT5_li,comdat
	.globl	_ZL18rocblas_rot_kernelIiLi512E19rocblas_complex_numIdEPS1_S2_PKS1_S4_EviT2_lllT3_lllT4_lT5_li ; -- Begin function _ZL18rocblas_rot_kernelIiLi512E19rocblas_complex_numIdEPS1_S2_PKS1_S4_EviT2_lllT3_lllT4_lT5_li
	.p2align	8
	.type	_ZL18rocblas_rot_kernelIiLi512E19rocblas_complex_numIdEPS1_S2_PKS1_S4_EviT2_lllT3_lllT4_lT5_li,@function
_ZL18rocblas_rot_kernelIiLi512E19rocblas_complex_numIdEPS1_S2_PKS1_S4_EviT2_lllT3_lllT4_lT5_li: ; @_ZL18rocblas_rot_kernelIiLi512E19rocblas_complex_numIdEPS1_S2_PKS1_S4_EviT2_lllT3_lllT4_lT5_li
; %bb.0:
	s_clause 0x1
	s_load_b32 s3, s[0:1], 0x7c
	s_load_b32 s2, s[0:1], 0x0
	s_waitcnt lgkmcnt(0)
	s_and_b32 s3, s3, 0xffff
	s_delay_alu instid0(SALU_CYCLE_1)
	v_mad_u64_u32 v[1:2], null, s14, s3, v[0:1]
	v_mov_b32_e32 v2, 0
	s_ashr_i32 s3, s2, 31
	s_delay_alu instid0(VALU_DEP_1) | instid1(SALU_CYCLE_1)
	v_cmp_gt_i64_e32 vcc_lo, s[2:3], v[1:2]
	s_and_saveexec_b32 s2, vcc_lo
	s_cbranch_execz .LBB18_2
; %bb.1:
	s_load_b512 s[16:31], s[0:1], 0x8
	s_waitcnt lgkmcnt(0)
	v_mad_u64_u32 v[2:3], null, v1, s28, 0
	v_mad_u64_u32 v[4:5], null, v1, s20, 0
	s_mul_i32 s3, s15, s31
	s_mul_hi_u32 s4, s15, s30
	s_mul_i32 s2, s15, s30
	s_add_i32 s3, s4, s3
	s_delay_alu instid0(VALU_DEP_2) | instskip(SKIP_1) | instid1(VALU_DEP_2)
	v_mov_b32_e32 v0, v3
	s_lshl_b64 s[2:3], s[2:3], 4
	v_mov_b32_e32 v3, v5
	s_add_u32 s7, s24, s2
	s_addc_u32 s8, s25, s3
	v_mad_u64_u32 v[5:6], null, v1, s29, v[0:1]
	s_delay_alu instid0(VALU_DEP_2) | instskip(SKIP_4) | instid1(VALU_DEP_2)
	v_mad_u64_u32 v[6:7], null, v1, s21, v[3:4]
	s_lshl_b64 s[2:3], s[26:27], 4
	s_mul_i32 s5, s15, s23
	s_mul_hi_u32 s6, s15, s22
	s_add_u32 s7, s7, s2
	v_mov_b32_e32 v3, v5
	s_mul_i32 s4, s15, s22
	s_delay_alu instid0(VALU_DEP_2)
	v_mov_b32_e32 v5, v6
	s_addc_u32 s8, s8, s3
	s_add_i32 s5, s6, s5
	v_lshlrev_b64 v[0:1], 4, v[2:3]
	s_lshl_b64 s[2:3], s[4:5], 4
	v_lshlrev_b64 v[2:3], 4, v[4:5]
	s_add_u32 s4, s16, s2
	s_addc_u32 s5, s17, s3
	s_lshl_b64 s[2:3], s[18:19], 4
	v_add_co_u32 v8, vcc_lo, s7, v0
	s_add_u32 s2, s4, s2
	v_add_co_ci_u32_e32 v9, vcc_lo, s8, v1, vcc_lo
	s_addc_u32 s3, s5, s3
	v_add_co_u32 v10, vcc_lo, s2, v2
	v_add_co_ci_u32_e32 v11, vcc_lo, s3, v3, vcc_lo
	global_load_b128 v[0:3], v[8:9], off
	global_load_b128 v[4:7], v[10:11], off
	s_load_b256 s[0:7], s[0:1], 0x48
	s_waitcnt lgkmcnt(0)
	s_mul_i32 s7, s15, s7
	s_mul_hi_u32 s8, s15, s6
	s_mul_i32 s6, s15, s6
	s_add_i32 s7, s8, s7
	s_mul_i32 s3, s15, s3
	s_lshl_b64 s[6:7], s[6:7], 4
	s_delay_alu instid0(SALU_CYCLE_1)
	s_add_u32 s4, s4, s6
	s_addc_u32 s5, s5, s7
	s_load_b128 s[4:7], s[4:5], 0x0
	s_waitcnt vmcnt(1) lgkmcnt(0)
	v_mul_f64 v[12:13], s[6:7], v[2:3]
	s_waitcnt vmcnt(0)
	v_mul_f64 v[14:15], s[6:7], v[6:7]
	v_mul_f64 v[16:17], s[6:7], v[4:5]
	;; [unrolled: 1-line block ×3, first 2 shown]
	s_delay_alu instid0(VALU_DEP_4) | instskip(NEXT) | instid1(VALU_DEP_4)
	v_fma_f64 v[12:13], s[4:5], v[0:1], -v[12:13]
	v_fma_f64 v[14:15], s[4:5], v[4:5], v[14:15]
	s_delay_alu instid0(VALU_DEP_4) | instskip(NEXT) | instid1(VALU_DEP_4)
	v_fma_f64 v[16:17], s[4:5], v[6:7], -v[16:17]
	v_fma_f64 v[18:19], s[6:7], v[0:1], v[18:19]
	s_mul_hi_u32 s4, s15, s2
	s_mul_i32 s2, s15, s2
	s_add_i32 s3, s4, s3
	s_delay_alu instid0(SALU_CYCLE_1) | instskip(NEXT) | instid1(SALU_CYCLE_1)
	s_lshl_b64 s[2:3], s[2:3], 4
	s_add_u32 s0, s0, s2
	s_addc_u32 s1, s1, s3
	s_load_b64 s[0:1], s[0:1], 0x0
	s_waitcnt lgkmcnt(0)
	s_delay_alu instid0(VALU_DEP_4) | instskip(NEXT) | instid1(VALU_DEP_4)
	v_fma_f64 v[4:5], s[0:1], v[4:5], v[12:13]
	v_fma_f64 v[0:1], s[0:1], v[0:1], -v[14:15]
	s_delay_alu instid0(VALU_DEP_4) | instskip(NEXT) | instid1(VALU_DEP_4)
	v_fma_f64 v[2:3], s[0:1], v[2:3], -v[16:17]
	v_fma_f64 v[6:7], s[0:1], v[6:7], v[18:19]
	global_store_b128 v[8:9], v[0:3], off
	global_store_b128 v[10:11], v[4:7], off
.LBB18_2:
	s_nop 0
	s_sendmsg sendmsg(MSG_DEALLOC_VGPRS)
	s_endpgm
	.section	.rodata,"a",@progbits
	.p2align	6, 0x0
	.amdhsa_kernel _ZL18rocblas_rot_kernelIiLi512E19rocblas_complex_numIdEPS1_S2_PKS1_S4_EviT2_lllT3_lllT4_lT5_li
		.amdhsa_group_segment_fixed_size 0
		.amdhsa_private_segment_fixed_size 0
		.amdhsa_kernarg_size 368
		.amdhsa_user_sgpr_count 14
		.amdhsa_user_sgpr_dispatch_ptr 0
		.amdhsa_user_sgpr_queue_ptr 0
		.amdhsa_user_sgpr_kernarg_segment_ptr 1
		.amdhsa_user_sgpr_dispatch_id 0
		.amdhsa_user_sgpr_private_segment_size 0
		.amdhsa_wavefront_size32 1
		.amdhsa_uses_dynamic_stack 0
		.amdhsa_enable_private_segment 0
		.amdhsa_system_sgpr_workgroup_id_x 1
		.amdhsa_system_sgpr_workgroup_id_y 0
		.amdhsa_system_sgpr_workgroup_id_z 1
		.amdhsa_system_sgpr_workgroup_info 0
		.amdhsa_system_vgpr_workitem_id 0
		.amdhsa_next_free_vgpr 20
		.amdhsa_next_free_sgpr 32
		.amdhsa_reserve_vcc 1
		.amdhsa_float_round_mode_32 0
		.amdhsa_float_round_mode_16_64 0
		.amdhsa_float_denorm_mode_32 3
		.amdhsa_float_denorm_mode_16_64 3
		.amdhsa_dx10_clamp 1
		.amdhsa_ieee_mode 1
		.amdhsa_fp16_overflow 0
		.amdhsa_workgroup_processor_mode 1
		.amdhsa_memory_ordered 1
		.amdhsa_forward_progress 0
		.amdhsa_shared_vgpr_count 0
		.amdhsa_exception_fp_ieee_invalid_op 0
		.amdhsa_exception_fp_denorm_src 0
		.amdhsa_exception_fp_ieee_div_zero 0
		.amdhsa_exception_fp_ieee_overflow 0
		.amdhsa_exception_fp_ieee_underflow 0
		.amdhsa_exception_fp_ieee_inexact 0
		.amdhsa_exception_int_div_zero 0
	.end_amdhsa_kernel
	.section	.text._ZL18rocblas_rot_kernelIiLi512E19rocblas_complex_numIdEPS1_S2_PKS1_S4_EviT2_lllT3_lllT4_lT5_li,"axG",@progbits,_ZL18rocblas_rot_kernelIiLi512E19rocblas_complex_numIdEPS1_S2_PKS1_S4_EviT2_lllT3_lllT4_lT5_li,comdat
.Lfunc_end18:
	.size	_ZL18rocblas_rot_kernelIiLi512E19rocblas_complex_numIdEPS1_S2_PKS1_S4_EviT2_lllT3_lllT4_lT5_li, .Lfunc_end18-_ZL18rocblas_rot_kernelIiLi512E19rocblas_complex_numIdEPS1_S2_PKS1_S4_EviT2_lllT3_lllT4_lT5_li
                                        ; -- End function
	.section	.AMDGPU.csdata,"",@progbits
; Kernel info:
; codeLenInByte = 520
; NumSgprs: 34
; NumVgprs: 20
; ScratchSize: 0
; MemoryBound: 0
; FloatMode: 240
; IeeeMode: 1
; LDSByteSize: 0 bytes/workgroup (compile time only)
; SGPRBlocks: 4
; VGPRBlocks: 2
; NumSGPRsForWavesPerEU: 34
; NumVGPRsForWavesPerEU: 20
; Occupancy: 16
; WaveLimiterHint : 0
; COMPUTE_PGM_RSRC2:SCRATCH_EN: 0
; COMPUTE_PGM_RSRC2:USER_SGPR: 14
; COMPUTE_PGM_RSRC2:TRAP_HANDLER: 0
; COMPUTE_PGM_RSRC2:TGID_X_EN: 1
; COMPUTE_PGM_RSRC2:TGID_Y_EN: 0
; COMPUTE_PGM_RSRC2:TGID_Z_EN: 1
; COMPUTE_PGM_RSRC2:TIDIG_COMP_CNT: 0
	.section	.text._ZL18rocblas_rot_kernelIiLi512E19rocblas_complex_numIdEPS1_S2_S1_S1_EviT2_lllT3_lllT4_lT5_li,"axG",@progbits,_ZL18rocblas_rot_kernelIiLi512E19rocblas_complex_numIdEPS1_S2_S1_S1_EviT2_lllT3_lllT4_lT5_li,comdat
	.globl	_ZL18rocblas_rot_kernelIiLi512E19rocblas_complex_numIdEPS1_S2_S1_S1_EviT2_lllT3_lllT4_lT5_li ; -- Begin function _ZL18rocblas_rot_kernelIiLi512E19rocblas_complex_numIdEPS1_S2_S1_S1_EviT2_lllT3_lllT4_lT5_li
	.p2align	8
	.type	_ZL18rocblas_rot_kernelIiLi512E19rocblas_complex_numIdEPS1_S2_S1_S1_EviT2_lllT3_lllT4_lT5_li,@function
_ZL18rocblas_rot_kernelIiLi512E19rocblas_complex_numIdEPS1_S2_S1_S1_EviT2_lllT3_lllT4_lT5_li: ; @_ZL18rocblas_rot_kernelIiLi512E19rocblas_complex_numIdEPS1_S2_S1_S1_EviT2_lllT3_lllT4_lT5_li
; %bb.0:
	s_clause 0x1
	s_load_b32 s3, s[0:1], 0x8c
	s_load_b32 s2, s[0:1], 0x0
	s_waitcnt lgkmcnt(0)
	s_and_b32 s3, s3, 0xffff
	s_delay_alu instid0(SALU_CYCLE_1)
	v_mad_u64_u32 v[1:2], null, s14, s3, v[0:1]
	v_mov_b32_e32 v2, 0
	s_ashr_i32 s3, s2, 31
	s_delay_alu instid0(VALU_DEP_1) | instid1(SALU_CYCLE_1)
	v_cmp_gt_i64_e32 vcc_lo, s[2:3], v[1:2]
	s_and_saveexec_b32 s2, vcc_lo
	s_cbranch_execz .LBB19_2
; %bb.1:
	s_load_b512 s[16:31], s[0:1], 0x8
	s_waitcnt lgkmcnt(0)
	v_mad_u64_u32 v[2:3], null, v1, s28, 0
	v_mad_u64_u32 v[4:5], null, v1, s20, 0
	s_mul_i32 s3, s15, s31
	s_mul_hi_u32 s4, s15, s30
	s_mul_i32 s2, s15, s30
	s_add_i32 s3, s4, s3
	s_delay_alu instid0(VALU_DEP_2) | instskip(SKIP_1) | instid1(VALU_DEP_2)
	v_mov_b32_e32 v0, v3
	s_lshl_b64 s[2:3], s[2:3], 4
	v_mov_b32_e32 v3, v5
	s_add_u32 s7, s24, s2
	s_addc_u32 s8, s25, s3
	v_mad_u64_u32 v[5:6], null, v1, s29, v[0:1]
	s_delay_alu instid0(VALU_DEP_2) | instskip(SKIP_4) | instid1(VALU_DEP_2)
	v_mad_u64_u32 v[6:7], null, v1, s21, v[3:4]
	s_lshl_b64 s[2:3], s[26:27], 4
	s_mul_i32 s5, s15, s23
	s_mul_hi_u32 s6, s15, s22
	s_add_u32 s7, s7, s2
	v_mov_b32_e32 v3, v5
	s_mul_i32 s4, s15, s22
	s_delay_alu instid0(VALU_DEP_2)
	v_mov_b32_e32 v5, v6
	s_addc_u32 s8, s8, s3
	s_add_i32 s5, s6, s5
	v_lshlrev_b64 v[0:1], 4, v[2:3]
	s_lshl_b64 s[2:3], s[4:5], 4
	v_lshlrev_b64 v[2:3], 4, v[4:5]
	s_add_u32 s4, s16, s2
	s_addc_u32 s5, s17, s3
	s_lshl_b64 s[2:3], s[18:19], 4
	v_add_co_u32 v8, vcc_lo, s7, v0
	s_add_u32 s2, s4, s2
	v_add_co_ci_u32_e32 v9, vcc_lo, s8, v1, vcc_lo
	s_addc_u32 s3, s5, s3
	v_add_co_u32 v10, vcc_lo, s2, v2
	v_add_co_ci_u32_e32 v11, vcc_lo, s3, v3, vcc_lo
	global_load_b128 v[0:3], v[8:9], off
	global_load_b128 v[4:7], v[10:11], off
	s_clause 0x1
	s_load_b128 s[4:7], s[0:1], 0x60
	s_load_b64 s[0:1], s[0:1], 0x48
	s_waitcnt vmcnt(1) lgkmcnt(0)
	v_mul_f64 v[12:13], s[6:7], v[2:3]
	s_waitcnt vmcnt(0)
	v_mul_f64 v[14:15], s[6:7], v[6:7]
	v_mul_f64 v[16:17], s[6:7], v[4:5]
	;; [unrolled: 1-line block ×3, first 2 shown]
	s_delay_alu instid0(VALU_DEP_4) | instskip(NEXT) | instid1(VALU_DEP_4)
	v_fma_f64 v[12:13], s[4:5], v[0:1], -v[12:13]
	v_fma_f64 v[14:15], s[4:5], v[4:5], v[14:15]
	s_delay_alu instid0(VALU_DEP_4) | instskip(NEXT) | instid1(VALU_DEP_4)
	v_fma_f64 v[16:17], s[4:5], v[6:7], -v[16:17]
	v_fma_f64 v[18:19], s[6:7], v[0:1], v[18:19]
	s_delay_alu instid0(VALU_DEP_4) | instskip(NEXT) | instid1(VALU_DEP_4)
	v_fma_f64 v[4:5], s[0:1], v[4:5], v[12:13]
	v_fma_f64 v[0:1], s[0:1], v[0:1], -v[14:15]
	s_delay_alu instid0(VALU_DEP_4) | instskip(NEXT) | instid1(VALU_DEP_4)
	v_fma_f64 v[2:3], s[0:1], v[2:3], -v[16:17]
	v_fma_f64 v[6:7], s[0:1], v[6:7], v[18:19]
	global_store_b128 v[8:9], v[0:3], off
	global_store_b128 v[10:11], v[4:7], off
.LBB19_2:
	s_nop 0
	s_sendmsg sendmsg(MSG_DEALLOC_VGPRS)
	s_endpgm
	.section	.rodata,"a",@progbits
	.p2align	6, 0x0
	.amdhsa_kernel _ZL18rocblas_rot_kernelIiLi512E19rocblas_complex_numIdEPS1_S2_S1_S1_EviT2_lllT3_lllT4_lT5_li
		.amdhsa_group_segment_fixed_size 0
		.amdhsa_private_segment_fixed_size 0
		.amdhsa_kernarg_size 384
		.amdhsa_user_sgpr_count 14
		.amdhsa_user_sgpr_dispatch_ptr 0
		.amdhsa_user_sgpr_queue_ptr 0
		.amdhsa_user_sgpr_kernarg_segment_ptr 1
		.amdhsa_user_sgpr_dispatch_id 0
		.amdhsa_user_sgpr_private_segment_size 0
		.amdhsa_wavefront_size32 1
		.amdhsa_uses_dynamic_stack 0
		.amdhsa_enable_private_segment 0
		.amdhsa_system_sgpr_workgroup_id_x 1
		.amdhsa_system_sgpr_workgroup_id_y 0
		.amdhsa_system_sgpr_workgroup_id_z 1
		.amdhsa_system_sgpr_workgroup_info 0
		.amdhsa_system_vgpr_workitem_id 0
		.amdhsa_next_free_vgpr 20
		.amdhsa_next_free_sgpr 32
		.amdhsa_reserve_vcc 1
		.amdhsa_float_round_mode_32 0
		.amdhsa_float_round_mode_16_64 0
		.amdhsa_float_denorm_mode_32 3
		.amdhsa_float_denorm_mode_16_64 3
		.amdhsa_dx10_clamp 1
		.amdhsa_ieee_mode 1
		.amdhsa_fp16_overflow 0
		.amdhsa_workgroup_processor_mode 1
		.amdhsa_memory_ordered 1
		.amdhsa_forward_progress 0
		.amdhsa_shared_vgpr_count 0
		.amdhsa_exception_fp_ieee_invalid_op 0
		.amdhsa_exception_fp_denorm_src 0
		.amdhsa_exception_fp_ieee_div_zero 0
		.amdhsa_exception_fp_ieee_overflow 0
		.amdhsa_exception_fp_ieee_underflow 0
		.amdhsa_exception_fp_ieee_inexact 0
		.amdhsa_exception_int_div_zero 0
	.end_amdhsa_kernel
	.section	.text._ZL18rocblas_rot_kernelIiLi512E19rocblas_complex_numIdEPS1_S2_S1_S1_EviT2_lllT3_lllT4_lT5_li,"axG",@progbits,_ZL18rocblas_rot_kernelIiLi512E19rocblas_complex_numIdEPS1_S2_S1_S1_EviT2_lllT3_lllT4_lT5_li,comdat
.Lfunc_end19:
	.size	_ZL18rocblas_rot_kernelIiLi512E19rocblas_complex_numIdEPS1_S2_S1_S1_EviT2_lllT3_lllT4_lT5_li, .Lfunc_end19-_ZL18rocblas_rot_kernelIiLi512E19rocblas_complex_numIdEPS1_S2_S1_S1_EviT2_lllT3_lllT4_lT5_li
                                        ; -- End function
	.section	.AMDGPU.csdata,"",@progbits
; Kernel info:
; codeLenInByte = 444
; NumSgprs: 34
; NumVgprs: 20
; ScratchSize: 0
; MemoryBound: 0
; FloatMode: 240
; IeeeMode: 1
; LDSByteSize: 0 bytes/workgroup (compile time only)
; SGPRBlocks: 4
; VGPRBlocks: 2
; NumSGPRsForWavesPerEU: 34
; NumVGPRsForWavesPerEU: 20
; Occupancy: 16
; WaveLimiterHint : 1
; COMPUTE_PGM_RSRC2:SCRATCH_EN: 0
; COMPUTE_PGM_RSRC2:USER_SGPR: 14
; COMPUTE_PGM_RSRC2:TRAP_HANDLER: 0
; COMPUTE_PGM_RSRC2:TGID_X_EN: 1
; COMPUTE_PGM_RSRC2:TGID_Y_EN: 0
; COMPUTE_PGM_RSRC2:TGID_Z_EN: 1
; COMPUTE_PGM_RSRC2:TIDIG_COMP_CNT: 0
	.section	.text._ZL18rocblas_rot_kernelIiLi512EfPKPfS2_PKfS4_EviT2_lllT3_lllT4_lT5_li,"axG",@progbits,_ZL18rocblas_rot_kernelIiLi512EfPKPfS2_PKfS4_EviT2_lllT3_lllT4_lT5_li,comdat
	.globl	_ZL18rocblas_rot_kernelIiLi512EfPKPfS2_PKfS4_EviT2_lllT3_lllT4_lT5_li ; -- Begin function _ZL18rocblas_rot_kernelIiLi512EfPKPfS2_PKfS4_EviT2_lllT3_lllT4_lT5_li
	.p2align	8
	.type	_ZL18rocblas_rot_kernelIiLi512EfPKPfS2_PKfS4_EviT2_lllT3_lllT4_lT5_li,@function
_ZL18rocblas_rot_kernelIiLi512EfPKPfS2_PKfS4_EviT2_lllT3_lllT4_lT5_li: ; @_ZL18rocblas_rot_kernelIiLi512EfPKPfS2_PKfS4_EviT2_lllT3_lllT4_lT5_li
; %bb.0:
	s_clause 0x1
	s_load_b32 s3, s[0:1], 0x7c
	s_load_b32 s4, s[0:1], 0x0
	s_waitcnt lgkmcnt(0)
	s_and_b32 s3, s3, 0xffff
	s_ashr_i32 s5, s4, 31
	v_mad_u64_u32 v[1:2], null, s14, s3, v[0:1]
	v_mov_b32_e32 v2, 0
	s_mov_b32 s3, exec_lo
	s_delay_alu instid0(VALU_DEP_1)
	v_cmpx_gt_i64_e64 s[4:5], v[1:2]
	s_cbranch_execz .LBB20_2
; %bb.1:
	s_clause 0x1
	s_load_b128 s[4:7], s[0:1], 0x28
	s_load_b64 s[12:13], s[0:1], 0x18
	s_mov_b32 s2, s15
	s_mov_b32 s3, 0
	s_load_b64 s[16:17], s[0:1], 0x38
	s_lshl_b64 s[14:15], s[2:3], 3
	s_waitcnt lgkmcnt(0)
	s_add_u32 s4, s4, s14
	s_addc_u32 s5, s5, s15
	v_mad_u64_u32 v[2:3], null, v1, s12, 0
	s_load_b64 s[4:5], s[4:5], 0x0
	s_load_b128 s[8:11], s[0:1], 0x8
	v_mad_u64_u32 v[4:5], null, v1, s16, 0
	s_lshl_b64 s[6:7], s[6:7], 2
	s_delay_alu instid0(VALU_DEP_1) | instskip(NEXT) | instid1(VALU_DEP_1)
	v_dual_mov_b32 v0, v3 :: v_dual_mov_b32 v3, v5
	v_mad_u64_u32 v[5:6], null, v1, s13, v[0:1]
	s_delay_alu instid0(VALU_DEP_2) | instskip(NEXT) | instid1(VALU_DEP_2)
	v_mad_u64_u32 v[6:7], null, v1, s17, v[3:4]
	v_mov_b32_e32 v3, v5
	s_waitcnt lgkmcnt(0)
	s_add_u32 s3, s4, s6
	s_addc_u32 s12, s5, s7
	s_add_u32 s4, s8, s14
	s_addc_u32 s5, s9, s15
	s_delay_alu instid0(VALU_DEP_2) | instskip(SKIP_3) | instid1(VALU_DEP_2)
	v_mov_b32_e32 v5, v6
	s_load_b64 s[4:5], s[4:5], 0x0
	v_lshlrev_b64 v[0:1], 2, v[2:3]
	s_lshl_b64 s[6:7], s[10:11], 2
	v_lshlrev_b64 v[2:3], 2, v[4:5]
	s_waitcnt lgkmcnt(0)
	s_add_u32 s4, s4, s6
	s_addc_u32 s5, s5, s7
	v_add_co_u32 v0, vcc_lo, s4, v0
	v_add_co_ci_u32_e32 v1, vcc_lo, s5, v1, vcc_lo
	v_add_co_u32 v2, vcc_lo, s3, v2
	v_add_co_ci_u32_e32 v3, vcc_lo, s12, v3, vcc_lo
	global_load_b32 v4, v[0:1], off
	global_load_b32 v5, v[2:3], off
	s_load_b256 s[4:11], s[0:1], 0x48
	s_waitcnt lgkmcnt(0)
	s_mul_i32 s1, s2, s11
	s_mul_hi_u32 s3, s2, s10
	s_mul_i32 s0, s2, s10
	s_add_i32 s1, s3, s1
	s_mul_i32 s7, s2, s7
	s_lshl_b64 s[0:1], s[0:1], 2
	s_mul_hi_u32 s3, s2, s6
	s_add_u32 s0, s8, s0
	s_mul_i32 s2, s2, s6
	s_addc_u32 s1, s9, s1
	s_add_i32 s3, s3, s7
	s_load_b32 s6, s[0:1], 0x0
	s_lshl_b64 s[0:1], s[2:3], 2
	s_delay_alu instid0(SALU_CYCLE_1) | instskip(SKIP_4) | instid1(VALU_DEP_1)
	s_add_u32 s0, s4, s0
	s_addc_u32 s1, s5, s1
	s_load_b32 s0, s[0:1], 0x0
	s_waitcnt vmcnt(0) lgkmcnt(0)
	v_dual_mul_f32 v6, s6, v4 :: v_dual_mul_f32 v7, s6, v5
	v_fma_f32 v5, s0, v5, -v6
	s_delay_alu instid0(VALU_DEP_2)
	v_fmac_f32_e32 v7, s0, v4
	global_store_b32 v[2:3], v5, off
	global_store_b32 v[0:1], v7, off
.LBB20_2:
	s_nop 0
	s_sendmsg sendmsg(MSG_DEALLOC_VGPRS)
	s_endpgm
	.section	.rodata,"a",@progbits
	.p2align	6, 0x0
	.amdhsa_kernel _ZL18rocblas_rot_kernelIiLi512EfPKPfS2_PKfS4_EviT2_lllT3_lllT4_lT5_li
		.amdhsa_group_segment_fixed_size 0
		.amdhsa_private_segment_fixed_size 0
		.amdhsa_kernarg_size 368
		.amdhsa_user_sgpr_count 14
		.amdhsa_user_sgpr_dispatch_ptr 0
		.amdhsa_user_sgpr_queue_ptr 0
		.amdhsa_user_sgpr_kernarg_segment_ptr 1
		.amdhsa_user_sgpr_dispatch_id 0
		.amdhsa_user_sgpr_private_segment_size 0
		.amdhsa_wavefront_size32 1
		.amdhsa_uses_dynamic_stack 0
		.amdhsa_enable_private_segment 0
		.amdhsa_system_sgpr_workgroup_id_x 1
		.amdhsa_system_sgpr_workgroup_id_y 0
		.amdhsa_system_sgpr_workgroup_id_z 1
		.amdhsa_system_sgpr_workgroup_info 0
		.amdhsa_system_vgpr_workitem_id 0
		.amdhsa_next_free_vgpr 8
		.amdhsa_next_free_sgpr 18
		.amdhsa_reserve_vcc 1
		.amdhsa_float_round_mode_32 0
		.amdhsa_float_round_mode_16_64 0
		.amdhsa_float_denorm_mode_32 3
		.amdhsa_float_denorm_mode_16_64 3
		.amdhsa_dx10_clamp 1
		.amdhsa_ieee_mode 1
		.amdhsa_fp16_overflow 0
		.amdhsa_workgroup_processor_mode 1
		.amdhsa_memory_ordered 1
		.amdhsa_forward_progress 0
		.amdhsa_shared_vgpr_count 0
		.amdhsa_exception_fp_ieee_invalid_op 0
		.amdhsa_exception_fp_denorm_src 0
		.amdhsa_exception_fp_ieee_div_zero 0
		.amdhsa_exception_fp_ieee_overflow 0
		.amdhsa_exception_fp_ieee_underflow 0
		.amdhsa_exception_fp_ieee_inexact 0
		.amdhsa_exception_int_div_zero 0
	.end_amdhsa_kernel
	.section	.text._ZL18rocblas_rot_kernelIiLi512EfPKPfS2_PKfS4_EviT2_lllT3_lllT4_lT5_li,"axG",@progbits,_ZL18rocblas_rot_kernelIiLi512EfPKPfS2_PKfS4_EviT2_lllT3_lllT4_lT5_li,comdat
.Lfunc_end20:
	.size	_ZL18rocblas_rot_kernelIiLi512EfPKPfS2_PKfS4_EviT2_lllT3_lllT4_lT5_li, .Lfunc_end20-_ZL18rocblas_rot_kernelIiLi512EfPKPfS2_PKfS4_EviT2_lllT3_lllT4_lT5_li
                                        ; -- End function
	.section	.AMDGPU.csdata,"",@progbits
; Kernel info:
; codeLenInByte = 444
; NumSgprs: 20
; NumVgprs: 8
; ScratchSize: 0
; MemoryBound: 0
; FloatMode: 240
; IeeeMode: 1
; LDSByteSize: 0 bytes/workgroup (compile time only)
; SGPRBlocks: 2
; VGPRBlocks: 0
; NumSGPRsForWavesPerEU: 20
; NumVGPRsForWavesPerEU: 8
; Occupancy: 16
; WaveLimiterHint : 1
; COMPUTE_PGM_RSRC2:SCRATCH_EN: 0
; COMPUTE_PGM_RSRC2:USER_SGPR: 14
; COMPUTE_PGM_RSRC2:TRAP_HANDLER: 0
; COMPUTE_PGM_RSRC2:TGID_X_EN: 1
; COMPUTE_PGM_RSRC2:TGID_Y_EN: 0
; COMPUTE_PGM_RSRC2:TGID_Z_EN: 1
; COMPUTE_PGM_RSRC2:TIDIG_COMP_CNT: 0
	.section	.text._ZL18rocblas_rot_kernelIiLi512EfPKPfS2_ffEviT2_lllT3_lllT4_lT5_li,"axG",@progbits,_ZL18rocblas_rot_kernelIiLi512EfPKPfS2_ffEviT2_lllT3_lllT4_lT5_li,comdat
	.globl	_ZL18rocblas_rot_kernelIiLi512EfPKPfS2_ffEviT2_lllT3_lllT4_lT5_li ; -- Begin function _ZL18rocblas_rot_kernelIiLi512EfPKPfS2_ffEviT2_lllT3_lllT4_lT5_li
	.p2align	8
	.type	_ZL18rocblas_rot_kernelIiLi512EfPKPfS2_ffEviT2_lllT3_lllT4_lT5_li,@function
_ZL18rocblas_rot_kernelIiLi512EfPKPfS2_ffEviT2_lllT3_lllT4_lT5_li: ; @_ZL18rocblas_rot_kernelIiLi512EfPKPfS2_ffEviT2_lllT3_lllT4_lT5_li
; %bb.0:
	s_clause 0x1
	s_load_b32 s3, s[0:1], 0x7c
	s_load_b32 s4, s[0:1], 0x0
	s_waitcnt lgkmcnt(0)
	s_and_b32 s3, s3, 0xffff
	s_ashr_i32 s5, s4, 31
	v_mad_u64_u32 v[1:2], null, s14, s3, v[0:1]
	v_mov_b32_e32 v2, 0
	s_mov_b32 s3, exec_lo
	s_delay_alu instid0(VALU_DEP_1)
	v_cmpx_gt_i64_e64 s[4:5], v[1:2]
	s_cbranch_execz .LBB21_2
; %bb.1:
	s_clause 0x1
	s_load_b128 s[4:7], s[0:1], 0x28
	s_load_b64 s[12:13], s[0:1], 0x18
	s_mov_b32 s2, s15
	s_mov_b32 s3, 0
	s_load_b64 s[14:15], s[0:1], 0x38
	s_lshl_b64 s[2:3], s[2:3], 3
	s_waitcnt lgkmcnt(0)
	s_add_u32 s4, s4, s2
	s_addc_u32 s5, s5, s3
	v_mad_u64_u32 v[2:3], null, v1, s12, 0
	s_load_b64 s[4:5], s[4:5], 0x0
	s_load_b128 s[8:11], s[0:1], 0x8
	v_mad_u64_u32 v[4:5], null, v1, s14, 0
	s_lshl_b64 s[6:7], s[6:7], 2
	s_delay_alu instid0(VALU_DEP_1) | instskip(NEXT) | instid1(VALU_DEP_1)
	v_dual_mov_b32 v0, v3 :: v_dual_mov_b32 v3, v5
	v_mad_u64_u32 v[5:6], null, v1, s13, v[0:1]
	s_delay_alu instid0(VALU_DEP_2) | instskip(NEXT) | instid1(VALU_DEP_2)
	v_mad_u64_u32 v[6:7], null, v1, s15, v[3:4]
	v_mov_b32_e32 v3, v5
	s_waitcnt lgkmcnt(0)
	s_add_u32 s6, s4, s6
	s_addc_u32 s7, s5, s7
	s_add_u32 s2, s8, s2
	s_addc_u32 s3, s9, s3
	s_delay_alu instid0(VALU_DEP_2) | instskip(SKIP_3) | instid1(VALU_DEP_2)
	v_mov_b32_e32 v5, v6
	s_load_b64 s[2:3], s[2:3], 0x0
	v_lshlrev_b64 v[0:1], 2, v[2:3]
	s_lshl_b64 s[4:5], s[10:11], 2
	v_lshlrev_b64 v[2:3], 2, v[4:5]
	s_waitcnt lgkmcnt(0)
	s_add_u32 s2, s2, s4
	s_addc_u32 s3, s3, s5
	v_add_co_u32 v0, vcc_lo, s2, v0
	v_add_co_ci_u32_e32 v1, vcc_lo, s3, v1, vcc_lo
	v_add_co_u32 v2, vcc_lo, s6, v2
	v_add_co_ci_u32_e32 v3, vcc_lo, s7, v3, vcc_lo
	global_load_b32 v4, v[0:1], off
	global_load_b32 v5, v[2:3], off
	s_clause 0x1
	s_load_b32 s2, s[0:1], 0x58
	s_load_b32 s0, s[0:1], 0x48
	s_waitcnt vmcnt(0) lgkmcnt(0)
	v_dual_mul_f32 v6, s2, v4 :: v_dual_mul_f32 v7, s2, v5
	s_delay_alu instid0(VALU_DEP_1) | instskip(NEXT) | instid1(VALU_DEP_2)
	v_fma_f32 v5, v5, s0, -v6
	v_fmac_f32_e32 v7, s0, v4
	global_store_b32 v[2:3], v5, off
	global_store_b32 v[0:1], v7, off
.LBB21_2:
	s_nop 0
	s_sendmsg sendmsg(MSG_DEALLOC_VGPRS)
	s_endpgm
	.section	.rodata,"a",@progbits
	.p2align	6, 0x0
	.amdhsa_kernel _ZL18rocblas_rot_kernelIiLi512EfPKPfS2_ffEviT2_lllT3_lllT4_lT5_li
		.amdhsa_group_segment_fixed_size 0
		.amdhsa_private_segment_fixed_size 0
		.amdhsa_kernarg_size 368
		.amdhsa_user_sgpr_count 14
		.amdhsa_user_sgpr_dispatch_ptr 0
		.amdhsa_user_sgpr_queue_ptr 0
		.amdhsa_user_sgpr_kernarg_segment_ptr 1
		.amdhsa_user_sgpr_dispatch_id 0
		.amdhsa_user_sgpr_private_segment_size 0
		.amdhsa_wavefront_size32 1
		.amdhsa_uses_dynamic_stack 0
		.amdhsa_enable_private_segment 0
		.amdhsa_system_sgpr_workgroup_id_x 1
		.amdhsa_system_sgpr_workgroup_id_y 0
		.amdhsa_system_sgpr_workgroup_id_z 1
		.amdhsa_system_sgpr_workgroup_info 0
		.amdhsa_system_vgpr_workitem_id 0
		.amdhsa_next_free_vgpr 8
		.amdhsa_next_free_sgpr 16
		.amdhsa_reserve_vcc 1
		.amdhsa_float_round_mode_32 0
		.amdhsa_float_round_mode_16_64 0
		.amdhsa_float_denorm_mode_32 3
		.amdhsa_float_denorm_mode_16_64 3
		.amdhsa_dx10_clamp 1
		.amdhsa_ieee_mode 1
		.amdhsa_fp16_overflow 0
		.amdhsa_workgroup_processor_mode 1
		.amdhsa_memory_ordered 1
		.amdhsa_forward_progress 0
		.amdhsa_shared_vgpr_count 0
		.amdhsa_exception_fp_ieee_invalid_op 0
		.amdhsa_exception_fp_denorm_src 0
		.amdhsa_exception_fp_ieee_div_zero 0
		.amdhsa_exception_fp_ieee_overflow 0
		.amdhsa_exception_fp_ieee_underflow 0
		.amdhsa_exception_fp_ieee_inexact 0
		.amdhsa_exception_int_div_zero 0
	.end_amdhsa_kernel
	.section	.text._ZL18rocblas_rot_kernelIiLi512EfPKPfS2_ffEviT2_lllT3_lllT4_lT5_li,"axG",@progbits,_ZL18rocblas_rot_kernelIiLi512EfPKPfS2_ffEviT2_lllT3_lllT4_lT5_li,comdat
.Lfunc_end21:
	.size	_ZL18rocblas_rot_kernelIiLi512EfPKPfS2_ffEviT2_lllT3_lllT4_lT5_li, .Lfunc_end21-_ZL18rocblas_rot_kernelIiLi512EfPKPfS2_ffEviT2_lllT3_lllT4_lT5_li
                                        ; -- End function
	.section	.AMDGPU.csdata,"",@progbits
; Kernel info:
; codeLenInByte = 376
; NumSgprs: 18
; NumVgprs: 8
; ScratchSize: 0
; MemoryBound: 0
; FloatMode: 240
; IeeeMode: 1
; LDSByteSize: 0 bytes/workgroup (compile time only)
; SGPRBlocks: 2
; VGPRBlocks: 0
; NumSGPRsForWavesPerEU: 18
; NumVGPRsForWavesPerEU: 8
; Occupancy: 16
; WaveLimiterHint : 1
; COMPUTE_PGM_RSRC2:SCRATCH_EN: 0
; COMPUTE_PGM_RSRC2:USER_SGPR: 14
; COMPUTE_PGM_RSRC2:TRAP_HANDLER: 0
; COMPUTE_PGM_RSRC2:TGID_X_EN: 1
; COMPUTE_PGM_RSRC2:TGID_Y_EN: 0
; COMPUTE_PGM_RSRC2:TGID_Z_EN: 1
; COMPUTE_PGM_RSRC2:TIDIG_COMP_CNT: 0
	.section	.text._ZL18rocblas_rot_kernelIiLi512EdPKPdS2_PKdS4_EviT2_lllT3_lllT4_lT5_li,"axG",@progbits,_ZL18rocblas_rot_kernelIiLi512EdPKPdS2_PKdS4_EviT2_lllT3_lllT4_lT5_li,comdat
	.globl	_ZL18rocblas_rot_kernelIiLi512EdPKPdS2_PKdS4_EviT2_lllT3_lllT4_lT5_li ; -- Begin function _ZL18rocblas_rot_kernelIiLi512EdPKPdS2_PKdS4_EviT2_lllT3_lllT4_lT5_li
	.p2align	8
	.type	_ZL18rocblas_rot_kernelIiLi512EdPKPdS2_PKdS4_EviT2_lllT3_lllT4_lT5_li,@function
_ZL18rocblas_rot_kernelIiLi512EdPKPdS2_PKdS4_EviT2_lllT3_lllT4_lT5_li: ; @_ZL18rocblas_rot_kernelIiLi512EdPKPdS2_PKdS4_EviT2_lllT3_lllT4_lT5_li
; %bb.0:
	s_clause 0x1
	s_load_b32 s3, s[0:1], 0x7c
	s_load_b32 s4, s[0:1], 0x0
	s_waitcnt lgkmcnt(0)
	s_and_b32 s3, s3, 0xffff
	s_ashr_i32 s5, s4, 31
	v_mad_u64_u32 v[1:2], null, s14, s3, v[0:1]
	v_mov_b32_e32 v2, 0
	s_mov_b32 s3, exec_lo
	s_delay_alu instid0(VALU_DEP_1)
	v_cmpx_gt_i64_e64 s[4:5], v[1:2]
	s_cbranch_execz .LBB22_2
; %bb.1:
	s_clause 0x1
	s_load_b128 s[4:7], s[0:1], 0x28
	s_load_b64 s[12:13], s[0:1], 0x18
	s_mov_b32 s2, s15
	s_mov_b32 s3, 0
	s_load_b64 s[16:17], s[0:1], 0x38
	s_lshl_b64 s[14:15], s[2:3], 3
	s_waitcnt lgkmcnt(0)
	s_add_u32 s4, s4, s14
	s_addc_u32 s5, s5, s15
	v_mad_u64_u32 v[2:3], null, v1, s12, 0
	s_load_b64 s[4:5], s[4:5], 0x0
	s_load_b128 s[8:11], s[0:1], 0x8
	v_mad_u64_u32 v[4:5], null, v1, s16, 0
	s_lshl_b64 s[6:7], s[6:7], 3
	s_delay_alu instid0(VALU_DEP_1) | instskip(NEXT) | instid1(VALU_DEP_1)
	v_dual_mov_b32 v0, v3 :: v_dual_mov_b32 v3, v5
	v_mad_u64_u32 v[5:6], null, v1, s13, v[0:1]
	s_delay_alu instid0(VALU_DEP_2) | instskip(NEXT) | instid1(VALU_DEP_2)
	v_mad_u64_u32 v[6:7], null, v1, s17, v[3:4]
	v_mov_b32_e32 v3, v5
	s_waitcnt lgkmcnt(0)
	s_add_u32 s3, s4, s6
	s_addc_u32 s12, s5, s7
	s_add_u32 s4, s8, s14
	s_addc_u32 s5, s9, s15
	s_delay_alu instid0(VALU_DEP_2) | instskip(SKIP_3) | instid1(VALU_DEP_2)
	v_mov_b32_e32 v5, v6
	s_load_b64 s[4:5], s[4:5], 0x0
	v_lshlrev_b64 v[0:1], 3, v[2:3]
	s_lshl_b64 s[6:7], s[10:11], 3
	v_lshlrev_b64 v[2:3], 3, v[4:5]
	s_waitcnt lgkmcnt(0)
	s_add_u32 s4, s4, s6
	s_addc_u32 s5, s5, s7
	v_add_co_u32 v0, vcc_lo, s4, v0
	v_add_co_ci_u32_e32 v1, vcc_lo, s5, v1, vcc_lo
	v_add_co_u32 v2, vcc_lo, s3, v2
	v_add_co_ci_u32_e32 v3, vcc_lo, s12, v3, vcc_lo
	global_load_b64 v[4:5], v[0:1], off
	global_load_b64 v[6:7], v[2:3], off
	s_load_b256 s[4:11], s[0:1], 0x48
	s_waitcnt lgkmcnt(0)
	s_mul_i32 s1, s2, s11
	s_mul_hi_u32 s3, s2, s10
	s_mul_i32 s0, s2, s10
	s_add_i32 s1, s3, s1
	s_mul_hi_u32 s3, s2, s6
	s_lshl_b64 s[0:1], s[0:1], 3
	s_delay_alu instid0(SALU_CYCLE_1)
	s_add_u32 s0, s8, s0
	s_addc_u32 s1, s9, s1
	s_load_b64 s[0:1], s[0:1], 0x0
	s_waitcnt vmcnt(1) lgkmcnt(0)
	v_mul_f64 v[8:9], s[0:1], v[4:5]
	s_waitcnt vmcnt(0)
	v_mul_f64 v[10:11], s[0:1], v[6:7]
	s_mul_i32 s1, s2, s7
	s_mul_i32 s0, s2, s6
	s_add_i32 s1, s3, s1
	s_delay_alu instid0(SALU_CYCLE_1) | instskip(NEXT) | instid1(SALU_CYCLE_1)
	s_lshl_b64 s[0:1], s[0:1], 3
	s_add_u32 s0, s4, s0
	s_addc_u32 s1, s5, s1
	s_load_b64 s[0:1], s[0:1], 0x0
	s_waitcnt lgkmcnt(0)
	s_delay_alu instid0(VALU_DEP_2) | instskip(NEXT) | instid1(VALU_DEP_2)
	v_fma_f64 v[6:7], s[0:1], v[6:7], -v[8:9]
	v_fma_f64 v[4:5], s[0:1], v[4:5], v[10:11]
	global_store_b64 v[2:3], v[6:7], off
	global_store_b64 v[0:1], v[4:5], off
.LBB22_2:
	s_nop 0
	s_sendmsg sendmsg(MSG_DEALLOC_VGPRS)
	s_endpgm
	.section	.rodata,"a",@progbits
	.p2align	6, 0x0
	.amdhsa_kernel _ZL18rocblas_rot_kernelIiLi512EdPKPdS2_PKdS4_EviT2_lllT3_lllT4_lT5_li
		.amdhsa_group_segment_fixed_size 0
		.amdhsa_private_segment_fixed_size 0
		.amdhsa_kernarg_size 368
		.amdhsa_user_sgpr_count 14
		.amdhsa_user_sgpr_dispatch_ptr 0
		.amdhsa_user_sgpr_queue_ptr 0
		.amdhsa_user_sgpr_kernarg_segment_ptr 1
		.amdhsa_user_sgpr_dispatch_id 0
		.amdhsa_user_sgpr_private_segment_size 0
		.amdhsa_wavefront_size32 1
		.amdhsa_uses_dynamic_stack 0
		.amdhsa_enable_private_segment 0
		.amdhsa_system_sgpr_workgroup_id_x 1
		.amdhsa_system_sgpr_workgroup_id_y 0
		.amdhsa_system_sgpr_workgroup_id_z 1
		.amdhsa_system_sgpr_workgroup_info 0
		.amdhsa_system_vgpr_workitem_id 0
		.amdhsa_next_free_vgpr 12
		.amdhsa_next_free_sgpr 18
		.amdhsa_reserve_vcc 1
		.amdhsa_float_round_mode_32 0
		.amdhsa_float_round_mode_16_64 0
		.amdhsa_float_denorm_mode_32 3
		.amdhsa_float_denorm_mode_16_64 3
		.amdhsa_dx10_clamp 1
		.amdhsa_ieee_mode 1
		.amdhsa_fp16_overflow 0
		.amdhsa_workgroup_processor_mode 1
		.amdhsa_memory_ordered 1
		.amdhsa_forward_progress 0
		.amdhsa_shared_vgpr_count 0
		.amdhsa_exception_fp_ieee_invalid_op 0
		.amdhsa_exception_fp_denorm_src 0
		.amdhsa_exception_fp_ieee_div_zero 0
		.amdhsa_exception_fp_ieee_overflow 0
		.amdhsa_exception_fp_ieee_underflow 0
		.amdhsa_exception_fp_ieee_inexact 0
		.amdhsa_exception_int_div_zero 0
	.end_amdhsa_kernel
	.section	.text._ZL18rocblas_rot_kernelIiLi512EdPKPdS2_PKdS4_EviT2_lllT3_lllT4_lT5_li,"axG",@progbits,_ZL18rocblas_rot_kernelIiLi512EdPKPdS2_PKdS4_EviT2_lllT3_lllT4_lT5_li,comdat
.Lfunc_end22:
	.size	_ZL18rocblas_rot_kernelIiLi512EdPKPdS2_PKdS4_EviT2_lllT3_lllT4_lT5_li, .Lfunc_end22-_ZL18rocblas_rot_kernelIiLi512EdPKPdS2_PKdS4_EviT2_lllT3_lllT4_lT5_li
                                        ; -- End function
	.section	.AMDGPU.csdata,"",@progbits
; Kernel info:
; codeLenInByte = 468
; NumSgprs: 20
; NumVgprs: 12
; ScratchSize: 0
; MemoryBound: 0
; FloatMode: 240
; IeeeMode: 1
; LDSByteSize: 0 bytes/workgroup (compile time only)
; SGPRBlocks: 2
; VGPRBlocks: 1
; NumSGPRsForWavesPerEU: 20
; NumVGPRsForWavesPerEU: 12
; Occupancy: 16
; WaveLimiterHint : 1
; COMPUTE_PGM_RSRC2:SCRATCH_EN: 0
; COMPUTE_PGM_RSRC2:USER_SGPR: 14
; COMPUTE_PGM_RSRC2:TRAP_HANDLER: 0
; COMPUTE_PGM_RSRC2:TGID_X_EN: 1
; COMPUTE_PGM_RSRC2:TGID_Y_EN: 0
; COMPUTE_PGM_RSRC2:TGID_Z_EN: 1
; COMPUTE_PGM_RSRC2:TIDIG_COMP_CNT: 0
	.section	.text._ZL18rocblas_rot_kernelIiLi512EdPKPdS2_ddEviT2_lllT3_lllT4_lT5_li,"axG",@progbits,_ZL18rocblas_rot_kernelIiLi512EdPKPdS2_ddEviT2_lllT3_lllT4_lT5_li,comdat
	.globl	_ZL18rocblas_rot_kernelIiLi512EdPKPdS2_ddEviT2_lllT3_lllT4_lT5_li ; -- Begin function _ZL18rocblas_rot_kernelIiLi512EdPKPdS2_ddEviT2_lllT3_lllT4_lT5_li
	.p2align	8
	.type	_ZL18rocblas_rot_kernelIiLi512EdPKPdS2_ddEviT2_lllT3_lllT4_lT5_li,@function
_ZL18rocblas_rot_kernelIiLi512EdPKPdS2_ddEviT2_lllT3_lllT4_lT5_li: ; @_ZL18rocblas_rot_kernelIiLi512EdPKPdS2_ddEviT2_lllT3_lllT4_lT5_li
; %bb.0:
	s_clause 0x1
	s_load_b32 s3, s[0:1], 0x7c
	s_load_b32 s4, s[0:1], 0x0
	s_waitcnt lgkmcnt(0)
	s_and_b32 s3, s3, 0xffff
	s_ashr_i32 s5, s4, 31
	v_mad_u64_u32 v[1:2], null, s14, s3, v[0:1]
	v_mov_b32_e32 v2, 0
	s_mov_b32 s3, exec_lo
	s_delay_alu instid0(VALU_DEP_1)
	v_cmpx_gt_i64_e64 s[4:5], v[1:2]
	s_cbranch_execz .LBB23_2
; %bb.1:
	s_clause 0x1
	s_load_b128 s[4:7], s[0:1], 0x28
	s_load_b64 s[12:13], s[0:1], 0x18
	s_mov_b32 s2, s15
	s_mov_b32 s3, 0
	s_load_b64 s[14:15], s[0:1], 0x38
	s_lshl_b64 s[2:3], s[2:3], 3
	s_waitcnt lgkmcnt(0)
	s_add_u32 s4, s4, s2
	s_addc_u32 s5, s5, s3
	v_mad_u64_u32 v[2:3], null, v1, s12, 0
	s_load_b64 s[4:5], s[4:5], 0x0
	s_load_b128 s[8:11], s[0:1], 0x8
	v_mad_u64_u32 v[4:5], null, v1, s14, 0
	s_lshl_b64 s[6:7], s[6:7], 3
	s_delay_alu instid0(VALU_DEP_1) | instskip(NEXT) | instid1(VALU_DEP_1)
	v_dual_mov_b32 v0, v3 :: v_dual_mov_b32 v3, v5
	v_mad_u64_u32 v[5:6], null, v1, s13, v[0:1]
	s_delay_alu instid0(VALU_DEP_2) | instskip(NEXT) | instid1(VALU_DEP_2)
	v_mad_u64_u32 v[6:7], null, v1, s15, v[3:4]
	v_mov_b32_e32 v3, v5
	s_waitcnt lgkmcnt(0)
	s_add_u32 s6, s4, s6
	s_addc_u32 s7, s5, s7
	s_add_u32 s2, s8, s2
	s_addc_u32 s3, s9, s3
	s_delay_alu instid0(VALU_DEP_2) | instskip(SKIP_3) | instid1(VALU_DEP_2)
	v_mov_b32_e32 v5, v6
	s_load_b64 s[2:3], s[2:3], 0x0
	v_lshlrev_b64 v[0:1], 3, v[2:3]
	s_lshl_b64 s[4:5], s[10:11], 3
	v_lshlrev_b64 v[2:3], 3, v[4:5]
	s_waitcnt lgkmcnt(0)
	s_add_u32 s2, s2, s4
	s_addc_u32 s3, s3, s5
	v_add_co_u32 v0, vcc_lo, s2, v0
	v_add_co_ci_u32_e32 v1, vcc_lo, s3, v1, vcc_lo
	v_add_co_u32 v2, vcc_lo, s6, v2
	v_add_co_ci_u32_e32 v3, vcc_lo, s7, v3, vcc_lo
	global_load_b64 v[4:5], v[0:1], off
	global_load_b64 v[6:7], v[2:3], off
	s_clause 0x1
	s_load_b64 s[2:3], s[0:1], 0x58
	s_load_b64 s[0:1], s[0:1], 0x48
	s_waitcnt vmcnt(1) lgkmcnt(0)
	v_mul_f64 v[8:9], v[4:5], s[2:3]
	s_waitcnt vmcnt(0)
	v_mul_f64 v[10:11], v[6:7], s[2:3]
	s_delay_alu instid0(VALU_DEP_2) | instskip(NEXT) | instid1(VALU_DEP_2)
	v_fma_f64 v[6:7], v[6:7], s[0:1], -v[8:9]
	v_fma_f64 v[4:5], v[4:5], s[0:1], v[10:11]
	global_store_b64 v[2:3], v[6:7], off
	global_store_b64 v[0:1], v[4:5], off
.LBB23_2:
	s_nop 0
	s_sendmsg sendmsg(MSG_DEALLOC_VGPRS)
	s_endpgm
	.section	.rodata,"a",@progbits
	.p2align	6, 0x0
	.amdhsa_kernel _ZL18rocblas_rot_kernelIiLi512EdPKPdS2_ddEviT2_lllT3_lllT4_lT5_li
		.amdhsa_group_segment_fixed_size 0
		.amdhsa_private_segment_fixed_size 0
		.amdhsa_kernarg_size 368
		.amdhsa_user_sgpr_count 14
		.amdhsa_user_sgpr_dispatch_ptr 0
		.amdhsa_user_sgpr_queue_ptr 0
		.amdhsa_user_sgpr_kernarg_segment_ptr 1
		.amdhsa_user_sgpr_dispatch_id 0
		.amdhsa_user_sgpr_private_segment_size 0
		.amdhsa_wavefront_size32 1
		.amdhsa_uses_dynamic_stack 0
		.amdhsa_enable_private_segment 0
		.amdhsa_system_sgpr_workgroup_id_x 1
		.amdhsa_system_sgpr_workgroup_id_y 0
		.amdhsa_system_sgpr_workgroup_id_z 1
		.amdhsa_system_sgpr_workgroup_info 0
		.amdhsa_system_vgpr_workitem_id 0
		.amdhsa_next_free_vgpr 12
		.amdhsa_next_free_sgpr 16
		.amdhsa_reserve_vcc 1
		.amdhsa_float_round_mode_32 0
		.amdhsa_float_round_mode_16_64 0
		.amdhsa_float_denorm_mode_32 3
		.amdhsa_float_denorm_mode_16_64 3
		.amdhsa_dx10_clamp 1
		.amdhsa_ieee_mode 1
		.amdhsa_fp16_overflow 0
		.amdhsa_workgroup_processor_mode 1
		.amdhsa_memory_ordered 1
		.amdhsa_forward_progress 0
		.amdhsa_shared_vgpr_count 0
		.amdhsa_exception_fp_ieee_invalid_op 0
		.amdhsa_exception_fp_denorm_src 0
		.amdhsa_exception_fp_ieee_div_zero 0
		.amdhsa_exception_fp_ieee_overflow 0
		.amdhsa_exception_fp_ieee_underflow 0
		.amdhsa_exception_fp_ieee_inexact 0
		.amdhsa_exception_int_div_zero 0
	.end_amdhsa_kernel
	.section	.text._ZL18rocblas_rot_kernelIiLi512EdPKPdS2_ddEviT2_lllT3_lllT4_lT5_li,"axG",@progbits,_ZL18rocblas_rot_kernelIiLi512EdPKPdS2_ddEviT2_lllT3_lllT4_lT5_li,comdat
.Lfunc_end23:
	.size	_ZL18rocblas_rot_kernelIiLi512EdPKPdS2_ddEviT2_lllT3_lllT4_lT5_li, .Lfunc_end23-_ZL18rocblas_rot_kernelIiLi512EdPKPdS2_ddEviT2_lllT3_lllT4_lT5_li
                                        ; -- End function
	.section	.AMDGPU.csdata,"",@progbits
; Kernel info:
; codeLenInByte = 392
; NumSgprs: 18
; NumVgprs: 12
; ScratchSize: 0
; MemoryBound: 0
; FloatMode: 240
; IeeeMode: 1
; LDSByteSize: 0 bytes/workgroup (compile time only)
; SGPRBlocks: 2
; VGPRBlocks: 1
; NumSGPRsForWavesPerEU: 18
; NumVGPRsForWavesPerEU: 12
; Occupancy: 16
; WaveLimiterHint : 1
; COMPUTE_PGM_RSRC2:SCRATCH_EN: 0
; COMPUTE_PGM_RSRC2:USER_SGPR: 14
; COMPUTE_PGM_RSRC2:TRAP_HANDLER: 0
; COMPUTE_PGM_RSRC2:TGID_X_EN: 1
; COMPUTE_PGM_RSRC2:TGID_Y_EN: 0
; COMPUTE_PGM_RSRC2:TGID_Z_EN: 1
; COMPUTE_PGM_RSRC2:TIDIG_COMP_CNT: 0
	.section	.text._ZL18rocblas_rot_kernelIiLi512EfPKP16rocblas_bfloat16S3_PKS0_S5_EviT2_lllT3_lllT4_lT5_li,"axG",@progbits,_ZL18rocblas_rot_kernelIiLi512EfPKP16rocblas_bfloat16S3_PKS0_S5_EviT2_lllT3_lllT4_lT5_li,comdat
	.globl	_ZL18rocblas_rot_kernelIiLi512EfPKP16rocblas_bfloat16S3_PKS0_S5_EviT2_lllT3_lllT4_lT5_li ; -- Begin function _ZL18rocblas_rot_kernelIiLi512EfPKP16rocblas_bfloat16S3_PKS0_S5_EviT2_lllT3_lllT4_lT5_li
	.p2align	8
	.type	_ZL18rocblas_rot_kernelIiLi512EfPKP16rocblas_bfloat16S3_PKS0_S5_EviT2_lllT3_lllT4_lT5_li,@function
_ZL18rocblas_rot_kernelIiLi512EfPKP16rocblas_bfloat16S3_PKS0_S5_EviT2_lllT3_lllT4_lT5_li: ; @_ZL18rocblas_rot_kernelIiLi512EfPKP16rocblas_bfloat16S3_PKS0_S5_EviT2_lllT3_lllT4_lT5_li
; %bb.0:
	s_clause 0x1
	s_load_b32 s3, s[0:1], 0x7c
	s_load_b32 s4, s[0:1], 0x0
	s_waitcnt lgkmcnt(0)
	s_and_b32 s3, s3, 0xffff
	s_ashr_i32 s5, s4, 31
	v_mad_u64_u32 v[2:3], null, s14, s3, v[0:1]
	v_mov_b32_e32 v3, 0
	s_mov_b32 s3, exec_lo
	s_delay_alu instid0(VALU_DEP_1)
	v_cmpx_gt_i64_e64 s[4:5], v[2:3]
	s_cbranch_execz .LBB24_26
; %bb.1:
	s_mov_b32 s2, s15
	s_clause 0x4
	s_load_b256 s[4:11], s[0:1], 0x48
	s_load_b64 s[20:21], s[0:1], 0x18
	s_load_b128 s[12:15], s[0:1], 0x28
	s_load_b128 s[16:19], s[0:1], 0x8
	s_load_b64 s[0:1], s[0:1], 0x38
	s_waitcnt lgkmcnt(0)
	s_mul_i32 s3, s2, s11
	s_mul_hi_u32 s11, s2, s10
	s_mul_i32 s10, s2, s10
	s_add_i32 s11, s11, s3
	s_mov_b32 s3, 0
	s_lshl_b64 s[10:11], s[10:11], 1
	v_mad_u64_u32 v[0:1], null, v2, s20, 0
	s_add_u32 s8, s8, s10
	s_addc_u32 s9, s9, s11
	s_lshl_b64 s[10:11], s[2:3], 3
	s_mul_i32 s3, s2, s7
	s_add_u32 s12, s12, s10
	s_addc_u32 s13, s13, s11
	s_add_u32 s10, s16, s10
	s_addc_u32 s11, s17, s11
	v_mad_u64_u32 v[4:5], null, v2, s21, v[1:2]
	s_load_b64 s[10:11], s[10:11], 0x0
	s_lshl_b64 s[16:17], s[18:19], 1
	s_mul_hi_u32 s7, s2, s6
	s_mul_i32 s2, s2, s6
	s_delay_alu instid0(VALU_DEP_1) | instskip(NEXT) | instid1(VALU_DEP_1)
	v_mov_b32_e32 v1, v4
	v_lshlrev_b64 v[0:1], 1, v[0:1]
	s_waitcnt lgkmcnt(0)
	s_add_u32 s6, s10, s16
	s_addc_u32 s10, s11, s17
	s_delay_alu instid0(VALU_DEP_1) | instskip(SKIP_3) | instid1(SALU_CYCLE_1)
	v_add_co_u32 v0, vcc_lo, s6, v0
	s_add_i32 s3, s7, s3
	v_add_co_ci_u32_e32 v1, vcc_lo, s10, v1, vcc_lo
	s_lshl_b64 s[2:3], s[2:3], 1
	s_add_u32 s2, s4, s2
	s_addc_u32 s3, s5, s3
	global_load_u16 v4, v[0:1], off
	s_clause 0x1
	global_load_u16 v7, v3, s[2:3]
	global_load_u16 v5, v3, s[8:9]
	s_load_b64 s[2:3], s[12:13], 0x0
	s_waitcnt vmcnt(2)
	v_lshlrev_b32_e32 v6, 16, v4
	s_waitcnt vmcnt(1)
	v_lshlrev_b32_e32 v7, 16, v7
	s_delay_alu instid0(VALU_DEP_1) | instskip(NEXT) | instid1(VALU_DEP_1)
	v_mul_f32_e32 v3, v7, v6
	v_and_b32_e32 v4, 0x7f800000, v3
	s_delay_alu instid0(VALU_DEP_1) | instskip(SKIP_1) | instid1(SALU_CYCLE_1)
	v_cmp_ne_u32_e32 vcc_lo, 0x7f800000, v4
                                        ; implicit-def: $vgpr4
	s_and_saveexec_b32 s4, vcc_lo
	s_xor_b32 s4, exec_lo, s4
; %bb.2:
	v_bfe_u32 v4, v3, 16, 1
	s_delay_alu instid0(VALU_DEP_1)
	v_add3_u32 v4, v3, v4, 0x7fff
                                        ; implicit-def: $vgpr3
; %bb.3:
	s_and_not1_saveexec_b32 s4, s4
; %bb.4:
	v_and_b32_e32 v4, 0xffff, v3
	v_or_b32_e32 v8, 0x10000, v3
	s_delay_alu instid0(VALU_DEP_2) | instskip(NEXT) | instid1(VALU_DEP_2)
	v_cmp_eq_u32_e32 vcc_lo, 0, v4
	v_cndmask_b32_e32 v4, v8, v3, vcc_lo
; %bb.5:
	s_or_b32 exec_lo, exec_lo, s4
	v_mad_u64_u32 v[8:9], null, v2, s0, 0
	s_delay_alu instid0(VALU_DEP_1) | instskip(NEXT) | instid1(VALU_DEP_1)
	v_mov_b32_e32 v3, v9
	v_mad_u64_u32 v[9:10], null, v2, s1, v[3:4]
	s_lshl_b64 s[0:1], s[14:15], 1
	s_waitcnt lgkmcnt(0)
	s_add_u32 s0, s2, s0
	s_addc_u32 s1, s3, s1
	s_delay_alu instid0(VALU_DEP_1) | instskip(SKIP_2) | instid1(VALU_DEP_2)
	v_lshlrev_b64 v[2:3], 1, v[8:9]
	s_waitcnt vmcnt(0)
	v_lshlrev_b32_e32 v8, 16, v5
	v_add_co_u32 v2, vcc_lo, s0, v2
	s_delay_alu instid0(VALU_DEP_3) | instskip(SKIP_3) | instid1(VALU_DEP_1)
	v_add_co_ci_u32_e32 v3, vcc_lo, s1, v3, vcc_lo
	global_load_u16 v9, v[2:3], off
	s_waitcnt vmcnt(0)
	v_lshlrev_b32_e32 v9, 16, v9
	v_mul_f32_e32 v10, v8, v9
	s_delay_alu instid0(VALU_DEP_1) | instskip(NEXT) | instid1(VALU_DEP_1)
	v_and_b32_e32 v5, 0x7f800000, v10
	v_cmp_ne_u32_e32 vcc_lo, 0x7f800000, v5
                                        ; implicit-def: $vgpr5
	s_and_saveexec_b32 s0, vcc_lo
	s_delay_alu instid0(SALU_CYCLE_1)
	s_xor_b32 s0, exec_lo, s0
; %bb.6:
	v_bfe_u32 v5, v10, 16, 1
	s_delay_alu instid0(VALU_DEP_1)
	v_add3_u32 v5, v10, v5, 0x7fff
                                        ; implicit-def: $vgpr10
; %bb.7:
	s_and_not1_saveexec_b32 s0, s0
; %bb.8:
	v_and_b32_e32 v5, 0xffff, v10
	v_or_b32_e32 v11, 0x10000, v10
	s_delay_alu instid0(VALU_DEP_2) | instskip(NEXT) | instid1(VALU_DEP_2)
	v_cmp_eq_u32_e32 vcc_lo, 0, v5
	v_cndmask_b32_e32 v5, v11, v10, vcc_lo
; %bb.9:
	s_or_b32 exec_lo, exec_lo, s0
	v_mul_f32_e32 v9, v7, v9
	s_delay_alu instid0(VALU_DEP_1) | instskip(NEXT) | instid1(VALU_DEP_1)
	v_and_b32_e32 v7, 0x7f800000, v9
	v_cmp_ne_u32_e32 vcc_lo, 0x7f800000, v7
                                        ; implicit-def: $vgpr7
	s_and_saveexec_b32 s0, vcc_lo
	s_delay_alu instid0(SALU_CYCLE_1)
	s_xor_b32 s0, exec_lo, s0
; %bb.10:
	v_bfe_u32 v7, v9, 16, 1
	s_delay_alu instid0(VALU_DEP_1)
	v_add3_u32 v7, v9, v7, 0x7fff
                                        ; implicit-def: $vgpr9
; %bb.11:
	s_and_not1_saveexec_b32 s0, s0
; %bb.12:
	v_and_b32_e32 v7, 0xffff, v9
	v_or_b32_e32 v10, 0x10000, v9
	s_delay_alu instid0(VALU_DEP_2) | instskip(NEXT) | instid1(VALU_DEP_2)
	v_cmp_eq_u32_e32 vcc_lo, 0, v7
	v_cndmask_b32_e32 v7, v10, v9, vcc_lo
; %bb.13:
	s_or_b32 exec_lo, exec_lo, s0
	v_mul_f32_e32 v6, v6, v8
	s_delay_alu instid0(VALU_DEP_1) | instskip(NEXT) | instid1(VALU_DEP_1)
	v_and_b32_e32 v8, 0x7f800000, v6
	v_cmp_ne_u32_e32 vcc_lo, 0x7f800000, v8
                                        ; implicit-def: $vgpr8
	s_and_saveexec_b32 s0, vcc_lo
	s_delay_alu instid0(SALU_CYCLE_1)
	s_xor_b32 s0, exec_lo, s0
; %bb.14:
	v_bfe_u32 v8, v6, 16, 1
	s_delay_alu instid0(VALU_DEP_1)
	v_add3_u32 v8, v6, v8, 0x7fff
                                        ; implicit-def: $vgpr6
; %bb.15:
	s_and_not1_saveexec_b32 s0, s0
; %bb.16:
	v_and_b32_e32 v8, 0xffff, v6
	v_or_b32_e32 v9, 0x10000, v6
	s_delay_alu instid0(VALU_DEP_2) | instskip(NEXT) | instid1(VALU_DEP_2)
	v_cmp_eq_u32_e32 vcc_lo, 0, v8
	v_cndmask_b32_e32 v8, v9, v6, vcc_lo
; %bb.17:
	s_or_b32 exec_lo, exec_lo, s0
	v_and_b32_e32 v6, 0xffff0000, v7
	s_delay_alu instid0(VALU_DEP_2) | instskip(NEXT) | instid1(VALU_DEP_1)
	v_and_b32_e32 v7, 0xffff0000, v8
	v_sub_f32_e32 v7, v6, v7
	s_delay_alu instid0(VALU_DEP_1) | instskip(NEXT) | instid1(VALU_DEP_1)
	v_and_b32_e32 v6, 0x7f800000, v7
	v_cmp_ne_u32_e32 vcc_lo, 0x7f800000, v6
                                        ; implicit-def: $vgpr6
	s_and_saveexec_b32 s0, vcc_lo
	s_delay_alu instid0(SALU_CYCLE_1)
	s_xor_b32 s0, exec_lo, s0
; %bb.18:
	v_bfe_u32 v6, v7, 16, 1
	s_delay_alu instid0(VALU_DEP_1)
	v_add3_u32 v6, v7, v6, 0x7fff
                                        ; implicit-def: $vgpr7
; %bb.19:
	s_and_not1_saveexec_b32 s0, s0
; %bb.20:
	v_and_b32_e32 v6, 0xffff, v7
	v_or_b32_e32 v8, 0x10000, v7
	s_delay_alu instid0(VALU_DEP_2) | instskip(NEXT) | instid1(VALU_DEP_2)
	v_cmp_eq_u32_e32 vcc_lo, 0, v6
	v_cndmask_b32_e32 v6, v8, v7, vcc_lo
; %bb.21:
	s_or_b32 exec_lo, exec_lo, s0
	v_and_b32_e32 v4, 0xffff0000, v4
	v_and_b32_e32 v5, 0xffff0000, v5
	s_mov_b32 s0, exec_lo
	global_store_d16_hi_b16 v[2:3], v6, off
                                        ; implicit-def: $vgpr2
	v_add_f32_e32 v4, v4, v5
	s_delay_alu instid0(VALU_DEP_1) | instskip(NEXT) | instid1(VALU_DEP_1)
	v_and_b32_e32 v5, 0x7f800000, v4
	v_cmpx_ne_u32_e32 0x7f800000, v5
	s_xor_b32 s0, exec_lo, s0
; %bb.22:
	v_bfe_u32 v2, v4, 16, 1
	s_delay_alu instid0(VALU_DEP_1)
	v_add3_u32 v2, v4, v2, 0x7fff
                                        ; implicit-def: $vgpr4
; %bb.23:
	s_and_not1_saveexec_b32 s0, s0
; %bb.24:
	v_and_b32_e32 v2, 0xffff, v4
	v_or_b32_e32 v3, 0x10000, v4
	s_delay_alu instid0(VALU_DEP_2) | instskip(NEXT) | instid1(VALU_DEP_2)
	v_cmp_eq_u32_e32 vcc_lo, 0, v2
	v_cndmask_b32_e32 v2, v3, v4, vcc_lo
; %bb.25:
	s_or_b32 exec_lo, exec_lo, s0
	global_store_d16_hi_b16 v[0:1], v2, off
.LBB24_26:
	s_nop 0
	s_sendmsg sendmsg(MSG_DEALLOC_VGPRS)
	s_endpgm
	.section	.rodata,"a",@progbits
	.p2align	6, 0x0
	.amdhsa_kernel _ZL18rocblas_rot_kernelIiLi512EfPKP16rocblas_bfloat16S3_PKS0_S5_EviT2_lllT3_lllT4_lT5_li
		.amdhsa_group_segment_fixed_size 0
		.amdhsa_private_segment_fixed_size 0
		.amdhsa_kernarg_size 368
		.amdhsa_user_sgpr_count 14
		.amdhsa_user_sgpr_dispatch_ptr 0
		.amdhsa_user_sgpr_queue_ptr 0
		.amdhsa_user_sgpr_kernarg_segment_ptr 1
		.amdhsa_user_sgpr_dispatch_id 0
		.amdhsa_user_sgpr_private_segment_size 0
		.amdhsa_wavefront_size32 1
		.amdhsa_uses_dynamic_stack 0
		.amdhsa_enable_private_segment 0
		.amdhsa_system_sgpr_workgroup_id_x 1
		.amdhsa_system_sgpr_workgroup_id_y 0
		.amdhsa_system_sgpr_workgroup_id_z 1
		.amdhsa_system_sgpr_workgroup_info 0
		.amdhsa_system_vgpr_workitem_id 0
		.amdhsa_next_free_vgpr 12
		.amdhsa_next_free_sgpr 22
		.amdhsa_reserve_vcc 1
		.amdhsa_float_round_mode_32 0
		.amdhsa_float_round_mode_16_64 0
		.amdhsa_float_denorm_mode_32 3
		.amdhsa_float_denorm_mode_16_64 3
		.amdhsa_dx10_clamp 1
		.amdhsa_ieee_mode 1
		.amdhsa_fp16_overflow 0
		.amdhsa_workgroup_processor_mode 1
		.amdhsa_memory_ordered 1
		.amdhsa_forward_progress 0
		.amdhsa_shared_vgpr_count 0
		.amdhsa_exception_fp_ieee_invalid_op 0
		.amdhsa_exception_fp_denorm_src 0
		.amdhsa_exception_fp_ieee_div_zero 0
		.amdhsa_exception_fp_ieee_overflow 0
		.amdhsa_exception_fp_ieee_underflow 0
		.amdhsa_exception_fp_ieee_inexact 0
		.amdhsa_exception_int_div_zero 0
	.end_amdhsa_kernel
	.section	.text._ZL18rocblas_rot_kernelIiLi512EfPKP16rocblas_bfloat16S3_PKS0_S5_EviT2_lllT3_lllT4_lT5_li,"axG",@progbits,_ZL18rocblas_rot_kernelIiLi512EfPKP16rocblas_bfloat16S3_PKS0_S5_EviT2_lllT3_lllT4_lT5_li,comdat
.Lfunc_end24:
	.size	_ZL18rocblas_rot_kernelIiLi512EfPKP16rocblas_bfloat16S3_PKS0_S5_EviT2_lllT3_lllT4_lT5_li, .Lfunc_end24-_ZL18rocblas_rot_kernelIiLi512EfPKP16rocblas_bfloat16S3_PKS0_S5_EviT2_lllT3_lllT4_lT5_li
                                        ; -- End function
	.section	.AMDGPU.csdata,"",@progbits
; Kernel info:
; codeLenInByte = 1052
; NumSgprs: 24
; NumVgprs: 12
; ScratchSize: 0
; MemoryBound: 0
; FloatMode: 240
; IeeeMode: 1
; LDSByteSize: 0 bytes/workgroup (compile time only)
; SGPRBlocks: 2
; VGPRBlocks: 1
; NumSGPRsForWavesPerEU: 24
; NumVGPRsForWavesPerEU: 12
; Occupancy: 16
; WaveLimiterHint : 1
; COMPUTE_PGM_RSRC2:SCRATCH_EN: 0
; COMPUTE_PGM_RSRC2:USER_SGPR: 14
; COMPUTE_PGM_RSRC2:TRAP_HANDLER: 0
; COMPUTE_PGM_RSRC2:TGID_X_EN: 1
; COMPUTE_PGM_RSRC2:TGID_Y_EN: 0
; COMPUTE_PGM_RSRC2:TGID_Z_EN: 1
; COMPUTE_PGM_RSRC2:TIDIG_COMP_CNT: 0
	.section	.text._ZL18rocblas_rot_kernelIiLi512EfPKP16rocblas_bfloat16S3_S0_S0_EviT2_lllT3_lllT4_lT5_li,"axG",@progbits,_ZL18rocblas_rot_kernelIiLi512EfPKP16rocblas_bfloat16S3_S0_S0_EviT2_lllT3_lllT4_lT5_li,comdat
	.globl	_ZL18rocblas_rot_kernelIiLi512EfPKP16rocblas_bfloat16S3_S0_S0_EviT2_lllT3_lllT4_lT5_li ; -- Begin function _ZL18rocblas_rot_kernelIiLi512EfPKP16rocblas_bfloat16S3_S0_S0_EviT2_lllT3_lllT4_lT5_li
	.p2align	8
	.type	_ZL18rocblas_rot_kernelIiLi512EfPKP16rocblas_bfloat16S3_S0_S0_EviT2_lllT3_lllT4_lT5_li,@function
_ZL18rocblas_rot_kernelIiLi512EfPKP16rocblas_bfloat16S3_S0_S0_EviT2_lllT3_lllT4_lT5_li: ; @_ZL18rocblas_rot_kernelIiLi512EfPKP16rocblas_bfloat16S3_S0_S0_EviT2_lllT3_lllT4_lT5_li
; %bb.0:
	s_clause 0x1
	s_load_b32 s3, s[0:1], 0x7c
	s_load_b32 s4, s[0:1], 0x0
	s_waitcnt lgkmcnt(0)
	s_and_b32 s3, s3, 0xffff
	s_ashr_i32 s5, s4, 31
	v_mad_u64_u32 v[2:3], null, s14, s3, v[0:1]
	v_mov_b32_e32 v3, 0
	s_mov_b32 s3, exec_lo
	s_delay_alu instid0(VALU_DEP_1)
	v_cmpx_gt_i64_e64 s[4:5], v[2:3]
	s_cbranch_execz .LBB25_26
; %bb.1:
	s_clause 0x2
	s_load_b64 s[12:13], s[0:1], 0x18
	s_load_b128 s[4:7], s[0:1], 0x28
	s_load_b128 s[8:11], s[0:1], 0x8
	s_mov_b32 s2, s15
	s_mov_b32 s3, 0
	s_delay_alu instid0(SALU_CYCLE_1)
	s_lshl_b64 s[14:15], s[2:3], 3
	s_load_b64 s[2:3], s[0:1], 0x38
	s_waitcnt lgkmcnt(0)
	v_mad_u64_u32 v[0:1], null, v2, s12, 0
	s_add_u32 s4, s4, s14
	s_addc_u32 s5, s5, s15
	s_add_u32 s8, s8, s14
	s_addc_u32 s9, s9, s15
	s_lshl_b64 s[10:11], s[10:11], 1
	s_load_b64 s[8:9], s[8:9], 0x0
	s_delay_alu instid0(VALU_DEP_1) | instskip(NEXT) | instid1(VALU_DEP_1)
	v_mad_u64_u32 v[3:4], null, v2, s13, v[1:2]
	v_mov_b32_e32 v1, v3
	s_delay_alu instid0(VALU_DEP_1) | instskip(SKIP_3) | instid1(VALU_DEP_1)
	v_lshlrev_b64 v[0:1], 1, v[0:1]
	s_waitcnt lgkmcnt(0)
	s_add_u32 s8, s8, s10
	s_addc_u32 s9, s9, s11
	v_add_co_u32 v0, vcc_lo, s8, v0
	s_delay_alu instid0(VALU_DEP_2)
	v_add_co_ci_u32_e32 v1, vcc_lo, s9, v1, vcc_lo
	global_load_u16 v3, v[0:1], off
	s_load_b32 s8, s[0:1], 0x48
	s_load_b64 s[4:5], s[4:5], 0x0
	s_waitcnt lgkmcnt(0)
	s_lshl_b32 s8, s8, 16
	s_waitcnt vmcnt(0)
	v_lshlrev_b32_e32 v5, 16, v3
	s_delay_alu instid0(VALU_DEP_1) | instskip(NEXT) | instid1(VALU_DEP_1)
	v_mul_f32_e32 v3, s8, v5
	v_and_b32_e32 v4, 0x7f800000, v3
	s_delay_alu instid0(VALU_DEP_1) | instskip(SKIP_1) | instid1(SALU_CYCLE_1)
	v_cmp_ne_u32_e32 vcc_lo, 0x7f800000, v4
                                        ; implicit-def: $vgpr4
	s_and_saveexec_b32 s9, vcc_lo
	s_xor_b32 s9, exec_lo, s9
; %bb.2:
	v_bfe_u32 v4, v3, 16, 1
	s_delay_alu instid0(VALU_DEP_1)
	v_add3_u32 v4, v3, v4, 0x7fff
                                        ; implicit-def: $vgpr3
; %bb.3:
	s_and_not1_saveexec_b32 s9, s9
; %bb.4:
	v_and_b32_e32 v4, 0xffff, v3
	v_or_b32_e32 v6, 0x10000, v3
	s_delay_alu instid0(VALU_DEP_2) | instskip(NEXT) | instid1(VALU_DEP_2)
	v_cmp_eq_u32_e32 vcc_lo, 0, v4
	v_cndmask_b32_e32 v4, v6, v3, vcc_lo
; %bb.5:
	s_or_b32 exec_lo, exec_lo, s9
	v_mad_u64_u32 v[6:7], null, v2, s2, 0
	s_load_b32 s0, s[0:1], 0x58
	s_delay_alu instid0(VALU_DEP_1) | instskip(NEXT) | instid1(VALU_DEP_1)
	v_mov_b32_e32 v3, v7
	v_mad_u64_u32 v[7:8], null, v2, s3, v[3:4]
	s_lshl_b64 s[2:3], s[6:7], 1
	s_delay_alu instid0(SALU_CYCLE_1) | instskip(SKIP_1) | instid1(VALU_DEP_1)
	s_add_u32 s2, s4, s2
	s_addc_u32 s3, s5, s3
	v_lshlrev_b64 v[2:3], 1, v[6:7]
	s_waitcnt lgkmcnt(0)
	s_lshl_b32 s0, s0, 16
	s_delay_alu instid0(VALU_DEP_1) | instskip(NEXT) | instid1(VALU_DEP_2)
	v_add_co_u32 v2, vcc_lo, s2, v2
	v_add_co_ci_u32_e32 v3, vcc_lo, s3, v3, vcc_lo
	global_load_u16 v6, v[2:3], off
	s_waitcnt vmcnt(0)
	v_lshlrev_b32_e32 v7, 16, v6
	s_delay_alu instid0(VALU_DEP_1) | instskip(NEXT) | instid1(VALU_DEP_1)
	v_mul_f32_e32 v8, s0, v7
	v_and_b32_e32 v6, 0x7f800000, v8
	s_delay_alu instid0(VALU_DEP_1) | instskip(SKIP_1) | instid1(SALU_CYCLE_1)
	v_cmp_ne_u32_e32 vcc_lo, 0x7f800000, v6
                                        ; implicit-def: $vgpr6
	s_and_saveexec_b32 s1, vcc_lo
	s_xor_b32 s1, exec_lo, s1
; %bb.6:
	v_bfe_u32 v6, v8, 16, 1
	s_delay_alu instid0(VALU_DEP_1)
	v_add3_u32 v6, v8, v6, 0x7fff
                                        ; implicit-def: $vgpr8
; %bb.7:
	s_and_not1_saveexec_b32 s1, s1
; %bb.8:
	v_and_b32_e32 v6, 0xffff, v8
	v_or_b32_e32 v9, 0x10000, v8
	s_delay_alu instid0(VALU_DEP_2) | instskip(NEXT) | instid1(VALU_DEP_2)
	v_cmp_eq_u32_e32 vcc_lo, 0, v6
	v_cndmask_b32_e32 v6, v9, v8, vcc_lo
; %bb.9:
	s_or_b32 exec_lo, exec_lo, s1
	v_mul_f32_e32 v8, s8, v7
	s_delay_alu instid0(VALU_DEP_1) | instskip(NEXT) | instid1(VALU_DEP_1)
	v_and_b32_e32 v7, 0x7f800000, v8
	v_cmp_ne_u32_e32 vcc_lo, 0x7f800000, v7
                                        ; implicit-def: $vgpr7
	s_and_saveexec_b32 s1, vcc_lo
	s_delay_alu instid0(SALU_CYCLE_1)
	s_xor_b32 s1, exec_lo, s1
; %bb.10:
	v_bfe_u32 v7, v8, 16, 1
	s_delay_alu instid0(VALU_DEP_1)
	v_add3_u32 v7, v8, v7, 0x7fff
                                        ; implicit-def: $vgpr8
; %bb.11:
	s_and_not1_saveexec_b32 s1, s1
; %bb.12:
	v_and_b32_e32 v7, 0xffff, v8
	v_or_b32_e32 v9, 0x10000, v8
	s_delay_alu instid0(VALU_DEP_2) | instskip(NEXT) | instid1(VALU_DEP_2)
	v_cmp_eq_u32_e32 vcc_lo, 0, v7
	v_cndmask_b32_e32 v7, v9, v8, vcc_lo
; %bb.13:
	s_or_b32 exec_lo, exec_lo, s1
	v_mul_f32_e32 v5, s0, v5
	s_delay_alu instid0(VALU_DEP_1) | instskip(NEXT) | instid1(VALU_DEP_1)
	v_and_b32_e32 v8, 0x7f800000, v5
	v_cmp_ne_u32_e32 vcc_lo, 0x7f800000, v8
                                        ; implicit-def: $vgpr8
	s_and_saveexec_b32 s0, vcc_lo
	s_delay_alu instid0(SALU_CYCLE_1)
	s_xor_b32 s0, exec_lo, s0
; %bb.14:
	v_bfe_u32 v8, v5, 16, 1
	s_delay_alu instid0(VALU_DEP_1)
	v_add3_u32 v8, v5, v8, 0x7fff
                                        ; implicit-def: $vgpr5
; %bb.15:
	s_and_not1_saveexec_b32 s0, s0
; %bb.16:
	v_and_b32_e32 v8, 0xffff, v5
	v_or_b32_e32 v9, 0x10000, v5
	s_delay_alu instid0(VALU_DEP_2) | instskip(NEXT) | instid1(VALU_DEP_2)
	v_cmp_eq_u32_e32 vcc_lo, 0, v8
	v_cndmask_b32_e32 v8, v9, v5, vcc_lo
; %bb.17:
	s_or_b32 exec_lo, exec_lo, s0
	v_and_b32_e32 v5, 0xffff0000, v7
	s_delay_alu instid0(VALU_DEP_2) | instskip(NEXT) | instid1(VALU_DEP_1)
	v_and_b32_e32 v7, 0xffff0000, v8
	v_sub_f32_e32 v7, v5, v7
	s_delay_alu instid0(VALU_DEP_1) | instskip(NEXT) | instid1(VALU_DEP_1)
	v_and_b32_e32 v5, 0x7f800000, v7
	v_cmp_ne_u32_e32 vcc_lo, 0x7f800000, v5
                                        ; implicit-def: $vgpr5
	s_and_saveexec_b32 s0, vcc_lo
	s_delay_alu instid0(SALU_CYCLE_1)
	s_xor_b32 s0, exec_lo, s0
; %bb.18:
	v_bfe_u32 v5, v7, 16, 1
	s_delay_alu instid0(VALU_DEP_1)
	v_add3_u32 v5, v7, v5, 0x7fff
                                        ; implicit-def: $vgpr7
; %bb.19:
	s_and_not1_saveexec_b32 s0, s0
; %bb.20:
	v_and_b32_e32 v5, 0xffff, v7
	v_or_b32_e32 v8, 0x10000, v7
	s_delay_alu instid0(VALU_DEP_2) | instskip(NEXT) | instid1(VALU_DEP_2)
	v_cmp_eq_u32_e32 vcc_lo, 0, v5
	v_cndmask_b32_e32 v5, v8, v7, vcc_lo
; %bb.21:
	s_or_b32 exec_lo, exec_lo, s0
	v_and_b32_e32 v4, 0xffff0000, v4
	v_and_b32_e32 v6, 0xffff0000, v6
	s_mov_b32 s0, exec_lo
	global_store_d16_hi_b16 v[2:3], v5, off
                                        ; implicit-def: $vgpr2
	v_add_f32_e32 v4, v4, v6
	s_delay_alu instid0(VALU_DEP_1) | instskip(NEXT) | instid1(VALU_DEP_1)
	v_and_b32_e32 v6, 0x7f800000, v4
	v_cmpx_ne_u32_e32 0x7f800000, v6
	s_xor_b32 s0, exec_lo, s0
; %bb.22:
	v_bfe_u32 v2, v4, 16, 1
	s_delay_alu instid0(VALU_DEP_1)
	v_add3_u32 v2, v4, v2, 0x7fff
                                        ; implicit-def: $vgpr4
; %bb.23:
	s_and_not1_saveexec_b32 s0, s0
; %bb.24:
	v_and_b32_e32 v2, 0xffff, v4
	v_or_b32_e32 v3, 0x10000, v4
	s_delay_alu instid0(VALU_DEP_2) | instskip(NEXT) | instid1(VALU_DEP_2)
	v_cmp_eq_u32_e32 vcc_lo, 0, v2
	v_cndmask_b32_e32 v2, v3, v4, vcc_lo
; %bb.25:
	s_or_b32 exec_lo, exec_lo, s0
	global_store_d16_hi_b16 v[0:1], v2, off
.LBB25_26:
	s_nop 0
	s_sendmsg sendmsg(MSG_DEALLOC_VGPRS)
	s_endpgm
	.section	.rodata,"a",@progbits
	.p2align	6, 0x0
	.amdhsa_kernel _ZL18rocblas_rot_kernelIiLi512EfPKP16rocblas_bfloat16S3_S0_S0_EviT2_lllT3_lllT4_lT5_li
		.amdhsa_group_segment_fixed_size 0
		.amdhsa_private_segment_fixed_size 0
		.amdhsa_kernarg_size 368
		.amdhsa_user_sgpr_count 14
		.amdhsa_user_sgpr_dispatch_ptr 0
		.amdhsa_user_sgpr_queue_ptr 0
		.amdhsa_user_sgpr_kernarg_segment_ptr 1
		.amdhsa_user_sgpr_dispatch_id 0
		.amdhsa_user_sgpr_private_segment_size 0
		.amdhsa_wavefront_size32 1
		.amdhsa_uses_dynamic_stack 0
		.amdhsa_enable_private_segment 0
		.amdhsa_system_sgpr_workgroup_id_x 1
		.amdhsa_system_sgpr_workgroup_id_y 0
		.amdhsa_system_sgpr_workgroup_id_z 1
		.amdhsa_system_sgpr_workgroup_info 0
		.amdhsa_system_vgpr_workitem_id 0
		.amdhsa_next_free_vgpr 10
		.amdhsa_next_free_sgpr 16
		.amdhsa_reserve_vcc 1
		.amdhsa_float_round_mode_32 0
		.amdhsa_float_round_mode_16_64 0
		.amdhsa_float_denorm_mode_32 3
		.amdhsa_float_denorm_mode_16_64 3
		.amdhsa_dx10_clamp 1
		.amdhsa_ieee_mode 1
		.amdhsa_fp16_overflow 0
		.amdhsa_workgroup_processor_mode 1
		.amdhsa_memory_ordered 1
		.amdhsa_forward_progress 0
		.amdhsa_shared_vgpr_count 0
		.amdhsa_exception_fp_ieee_invalid_op 0
		.amdhsa_exception_fp_denorm_src 0
		.amdhsa_exception_fp_ieee_div_zero 0
		.amdhsa_exception_fp_ieee_overflow 0
		.amdhsa_exception_fp_ieee_underflow 0
		.amdhsa_exception_fp_ieee_inexact 0
		.amdhsa_exception_int_div_zero 0
	.end_amdhsa_kernel
	.section	.text._ZL18rocblas_rot_kernelIiLi512EfPKP16rocblas_bfloat16S3_S0_S0_EviT2_lllT3_lllT4_lT5_li,"axG",@progbits,_ZL18rocblas_rot_kernelIiLi512EfPKP16rocblas_bfloat16S3_S0_S0_EviT2_lllT3_lllT4_lT5_li,comdat
.Lfunc_end25:
	.size	_ZL18rocblas_rot_kernelIiLi512EfPKP16rocblas_bfloat16S3_S0_S0_EviT2_lllT3_lllT4_lT5_li, .Lfunc_end25-_ZL18rocblas_rot_kernelIiLi512EfPKP16rocblas_bfloat16S3_S0_S0_EviT2_lllT3_lllT4_lT5_li
                                        ; -- End function
	.section	.AMDGPU.csdata,"",@progbits
; Kernel info:
; codeLenInByte = 988
; NumSgprs: 18
; NumVgprs: 10
; ScratchSize: 0
; MemoryBound: 0
; FloatMode: 240
; IeeeMode: 1
; LDSByteSize: 0 bytes/workgroup (compile time only)
; SGPRBlocks: 2
; VGPRBlocks: 1
; NumSGPRsForWavesPerEU: 18
; NumVGPRsForWavesPerEU: 10
; Occupancy: 16
; WaveLimiterHint : 1
; COMPUTE_PGM_RSRC2:SCRATCH_EN: 0
; COMPUTE_PGM_RSRC2:USER_SGPR: 14
; COMPUTE_PGM_RSRC2:TRAP_HANDLER: 0
; COMPUTE_PGM_RSRC2:TGID_X_EN: 1
; COMPUTE_PGM_RSRC2:TGID_Y_EN: 0
; COMPUTE_PGM_RSRC2:TGID_Z_EN: 1
; COMPUTE_PGM_RSRC2:TIDIG_COMP_CNT: 0
	.section	.text._ZL18rocblas_rot_kernelIiLi512EfPKPDF16_S2_PKDF16_S4_EviT2_lllT3_lllT4_lT5_li,"axG",@progbits,_ZL18rocblas_rot_kernelIiLi512EfPKPDF16_S2_PKDF16_S4_EviT2_lllT3_lllT4_lT5_li,comdat
	.globl	_ZL18rocblas_rot_kernelIiLi512EfPKPDF16_S2_PKDF16_S4_EviT2_lllT3_lllT4_lT5_li ; -- Begin function _ZL18rocblas_rot_kernelIiLi512EfPKPDF16_S2_PKDF16_S4_EviT2_lllT3_lllT4_lT5_li
	.p2align	8
	.type	_ZL18rocblas_rot_kernelIiLi512EfPKPDF16_S2_PKDF16_S4_EviT2_lllT3_lllT4_lT5_li,@function
_ZL18rocblas_rot_kernelIiLi512EfPKPDF16_S2_PKDF16_S4_EviT2_lllT3_lllT4_lT5_li: ; @_ZL18rocblas_rot_kernelIiLi512EfPKPDF16_S2_PKDF16_S4_EviT2_lllT3_lllT4_lT5_li
; %bb.0:
	s_clause 0x1
	s_load_b32 s3, s[0:1], 0x7c
	s_load_b32 s2, s[0:1], 0x0
	s_waitcnt lgkmcnt(0)
	s_and_b32 s3, s3, 0xffff
	s_delay_alu instid0(SALU_CYCLE_1)
	v_mad_u64_u32 v[1:2], null, s14, s3, v[0:1]
	v_mov_b32_e32 v2, 0
	s_ashr_i32 s3, s2, 31
	s_delay_alu instid0(VALU_DEP_1) | instid1(SALU_CYCLE_1)
	v_cmp_gt_i64_e32 vcc_lo, s[2:3], v[1:2]
	s_and_saveexec_b32 s2, vcc_lo
	s_cbranch_execz .LBB26_2
; %bb.1:
	s_clause 0x2
	s_load_b128 s[8:11], s[0:1], 0x28
	s_load_b64 s[22:23], s[0:1], 0x18
	s_load_b64 s[18:19], s[0:1], 0x38
	s_mov_b32 s16, s15
	s_mov_b32 s17, 0
	s_delay_alu instid0(SALU_CYCLE_1)
	s_lshl_b64 s[20:21], s[16:17], 3
	s_waitcnt lgkmcnt(0)
	s_add_u32 s2, s8, s20
	s_addc_u32 s3, s9, s21
	v_mad_u64_u32 v[3:4], null, v1, s18, 0
	s_load_b64 s[8:9], s[2:3], 0x0
	s_clause 0x1
	s_load_b128 s[12:15], s[0:1], 0x8
	s_load_b256 s[0:7], s[0:1], 0x48
	v_mad_u64_u32 v[5:6], null, v1, s22, 0
	s_lshl_b64 s[10:11], s[10:11], 1
	s_delay_alu instid0(VALU_DEP_2) | instskip(NEXT) | instid1(VALU_DEP_2)
	v_mov_b32_e32 v0, v4
	v_mov_b32_e32 v4, v6
	s_delay_alu instid0(VALU_DEP_2) | instskip(NEXT) | instid1(VALU_DEP_2)
	v_mad_u64_u32 v[6:7], null, v1, s19, v[0:1]
	v_mad_u64_u32 v[7:8], null, v1, s23, v[4:5]
	s_waitcnt lgkmcnt(0)
	s_add_u32 s17, s8, s10
	s_addc_u32 s18, s9, s11
	s_add_u32 s8, s12, s20
	s_addc_u32 s9, s13, s21
	s_delay_alu instid0(VALU_DEP_2)
	v_mov_b32_e32 v4, v6
	s_load_b64 s[8:9], s[8:9], 0x0
	v_mov_b32_e32 v6, v7
	s_lshl_b64 s[10:11], s[14:15], 1
	s_mul_i32 s7, s16, s7
	v_lshlrev_b64 v[0:1], 1, v[3:4]
	s_mul_hi_u32 s12, s16, s6
	v_lshlrev_b64 v[3:4], 1, v[5:6]
	s_mul_i32 s6, s16, s6
	s_mul_i32 s3, s16, s3
	s_mul_hi_u32 s13, s16, s2
	v_add_co_u32 v0, vcc_lo, s17, v0
	v_add_co_ci_u32_e32 v1, vcc_lo, s18, v1, vcc_lo
	s_mul_i32 s2, s16, s2
	s_waitcnt lgkmcnt(0)
	s_add_u32 s8, s8, s10
	s_addc_u32 s9, s9, s11
	s_add_i32 s7, s12, s7
	v_add_co_u32 v3, vcc_lo, s8, v3
	s_lshl_b64 s[6:7], s[6:7], 1
	v_add_co_ci_u32_e32 v4, vcc_lo, s9, v4, vcc_lo
	s_add_u32 s4, s4, s6
	s_addc_u32 s5, s5, s7
	s_add_i32 s3, s13, s3
	global_load_u16 v5, v[3:4], off
	global_load_u16 v6, v2, s[4:5]
	global_load_u16 v7, v[0:1], off
	s_lshl_b64 s[2:3], s[2:3], 1
	s_delay_alu instid0(SALU_CYCLE_1)
	s_add_u32 s0, s0, s2
	s_addc_u32 s1, s1, s3
	global_load_u16 v2, v2, s[0:1]
	s_waitcnt vmcnt(2)
	v_mul_f16_e32 v8, v6, v5
	s_waitcnt vmcnt(1)
	v_mul_f16_e32 v6, v6, v7
	s_waitcnt vmcnt(0)
	s_delay_alu instid0(VALU_DEP_2) | instskip(NEXT) | instid1(VALU_DEP_2)
	v_fma_f16 v7, v2, v7, -v8
	v_fmac_f16_e32 v6, v2, v5
	global_store_b16 v[0:1], v7, off
	global_store_b16 v[3:4], v6, off
.LBB26_2:
	s_nop 0
	s_sendmsg sendmsg(MSG_DEALLOC_VGPRS)
	s_endpgm
	.section	.rodata,"a",@progbits
	.p2align	6, 0x0
	.amdhsa_kernel _ZL18rocblas_rot_kernelIiLi512EfPKPDF16_S2_PKDF16_S4_EviT2_lllT3_lllT4_lT5_li
		.amdhsa_group_segment_fixed_size 0
		.amdhsa_private_segment_fixed_size 0
		.amdhsa_kernarg_size 368
		.amdhsa_user_sgpr_count 14
		.amdhsa_user_sgpr_dispatch_ptr 0
		.amdhsa_user_sgpr_queue_ptr 0
		.amdhsa_user_sgpr_kernarg_segment_ptr 1
		.amdhsa_user_sgpr_dispatch_id 0
		.amdhsa_user_sgpr_private_segment_size 0
		.amdhsa_wavefront_size32 1
		.amdhsa_uses_dynamic_stack 0
		.amdhsa_enable_private_segment 0
		.amdhsa_system_sgpr_workgroup_id_x 1
		.amdhsa_system_sgpr_workgroup_id_y 0
		.amdhsa_system_sgpr_workgroup_id_z 1
		.amdhsa_system_sgpr_workgroup_info 0
		.amdhsa_system_vgpr_workitem_id 0
		.amdhsa_next_free_vgpr 9
		.amdhsa_next_free_sgpr 24
		.amdhsa_reserve_vcc 1
		.amdhsa_float_round_mode_32 0
		.amdhsa_float_round_mode_16_64 0
		.amdhsa_float_denorm_mode_32 3
		.amdhsa_float_denorm_mode_16_64 3
		.amdhsa_dx10_clamp 1
		.amdhsa_ieee_mode 1
		.amdhsa_fp16_overflow 0
		.amdhsa_workgroup_processor_mode 1
		.amdhsa_memory_ordered 1
		.amdhsa_forward_progress 0
		.amdhsa_shared_vgpr_count 0
		.amdhsa_exception_fp_ieee_invalid_op 0
		.amdhsa_exception_fp_denorm_src 0
		.amdhsa_exception_fp_ieee_div_zero 0
		.amdhsa_exception_fp_ieee_overflow 0
		.amdhsa_exception_fp_ieee_underflow 0
		.amdhsa_exception_fp_ieee_inexact 0
		.amdhsa_exception_int_div_zero 0
	.end_amdhsa_kernel
	.section	.text._ZL18rocblas_rot_kernelIiLi512EfPKPDF16_S2_PKDF16_S4_EviT2_lllT3_lllT4_lT5_li,"axG",@progbits,_ZL18rocblas_rot_kernelIiLi512EfPKPDF16_S2_PKDF16_S4_EviT2_lllT3_lllT4_lT5_li,comdat
.Lfunc_end26:
	.size	_ZL18rocblas_rot_kernelIiLi512EfPKPDF16_S2_PKDF16_S4_EviT2_lllT3_lllT4_lT5_li, .Lfunc_end26-_ZL18rocblas_rot_kernelIiLi512EfPKPDF16_S2_PKDF16_S4_EviT2_lllT3_lllT4_lT5_li
                                        ; -- End function
	.section	.AMDGPU.csdata,"",@progbits
; Kernel info:
; codeLenInByte = 456
; NumSgprs: 26
; NumVgprs: 9
; ScratchSize: 0
; MemoryBound: 0
; FloatMode: 240
; IeeeMode: 1
; LDSByteSize: 0 bytes/workgroup (compile time only)
; SGPRBlocks: 3
; VGPRBlocks: 1
; NumSGPRsForWavesPerEU: 26
; NumVGPRsForWavesPerEU: 9
; Occupancy: 16
; WaveLimiterHint : 1
; COMPUTE_PGM_RSRC2:SCRATCH_EN: 0
; COMPUTE_PGM_RSRC2:USER_SGPR: 14
; COMPUTE_PGM_RSRC2:TRAP_HANDLER: 0
; COMPUTE_PGM_RSRC2:TGID_X_EN: 1
; COMPUTE_PGM_RSRC2:TGID_Y_EN: 0
; COMPUTE_PGM_RSRC2:TGID_Z_EN: 1
; COMPUTE_PGM_RSRC2:TIDIG_COMP_CNT: 0
	.section	.text._ZL18rocblas_rot_kernelIiLi512EfPKPDF16_S2_DF16_DF16_EviT2_lllT3_lllT4_lT5_li,"axG",@progbits,_ZL18rocblas_rot_kernelIiLi512EfPKPDF16_S2_DF16_DF16_EviT2_lllT3_lllT4_lT5_li,comdat
	.globl	_ZL18rocblas_rot_kernelIiLi512EfPKPDF16_S2_DF16_DF16_EviT2_lllT3_lllT4_lT5_li ; -- Begin function _ZL18rocblas_rot_kernelIiLi512EfPKPDF16_S2_DF16_DF16_EviT2_lllT3_lllT4_lT5_li
	.p2align	8
	.type	_ZL18rocblas_rot_kernelIiLi512EfPKPDF16_S2_DF16_DF16_EviT2_lllT3_lllT4_lT5_li,@function
_ZL18rocblas_rot_kernelIiLi512EfPKPDF16_S2_DF16_DF16_EviT2_lllT3_lllT4_lT5_li: ; @_ZL18rocblas_rot_kernelIiLi512EfPKPDF16_S2_DF16_DF16_EviT2_lllT3_lllT4_lT5_li
; %bb.0:
	s_clause 0x1
	s_load_b32 s3, s[0:1], 0x7c
	s_load_b32 s4, s[0:1], 0x0
	s_waitcnt lgkmcnt(0)
	s_and_b32 s3, s3, 0xffff
	s_ashr_i32 s5, s4, 31
	v_mad_u64_u32 v[1:2], null, s14, s3, v[0:1]
	v_mov_b32_e32 v2, 0
	s_mov_b32 s3, exec_lo
	s_delay_alu instid0(VALU_DEP_1)
	v_cmpx_gt_i64_e64 s[4:5], v[1:2]
	s_cbranch_execz .LBB27_2
; %bb.1:
	s_clause 0x1
	s_load_b128 s[4:7], s[0:1], 0x28
	s_load_b64 s[12:13], s[0:1], 0x18
	s_mov_b32 s2, s15
	s_mov_b32 s3, 0
	s_load_b64 s[14:15], s[0:1], 0x38
	s_lshl_b64 s[2:3], s[2:3], 3
	s_waitcnt lgkmcnt(0)
	s_add_u32 s4, s4, s2
	s_addc_u32 s5, s5, s3
	v_mad_u64_u32 v[2:3], null, v1, s12, 0
	s_load_b64 s[4:5], s[4:5], 0x0
	s_load_b128 s[8:11], s[0:1], 0x8
	v_mad_u64_u32 v[4:5], null, v1, s14, 0
	s_lshl_b64 s[6:7], s[6:7], 1
	s_delay_alu instid0(VALU_DEP_1) | instskip(NEXT) | instid1(VALU_DEP_1)
	v_dual_mov_b32 v0, v3 :: v_dual_mov_b32 v3, v5
	v_mad_u64_u32 v[5:6], null, v1, s13, v[0:1]
	s_delay_alu instid0(VALU_DEP_2) | instskip(NEXT) | instid1(VALU_DEP_2)
	v_mad_u64_u32 v[6:7], null, v1, s15, v[3:4]
	v_mov_b32_e32 v3, v5
	s_waitcnt lgkmcnt(0)
	s_add_u32 s6, s4, s6
	s_addc_u32 s7, s5, s7
	s_add_u32 s2, s8, s2
	s_addc_u32 s3, s9, s3
	s_delay_alu instid0(VALU_DEP_2) | instskip(SKIP_3) | instid1(VALU_DEP_2)
	v_mov_b32_e32 v5, v6
	s_load_b64 s[2:3], s[2:3], 0x0
	v_lshlrev_b64 v[0:1], 1, v[2:3]
	s_lshl_b64 s[4:5], s[10:11], 1
	v_lshlrev_b64 v[2:3], 1, v[4:5]
	s_waitcnt lgkmcnt(0)
	s_add_u32 s2, s2, s4
	s_addc_u32 s3, s3, s5
	v_add_co_u32 v0, vcc_lo, s2, v0
	v_add_co_ci_u32_e32 v1, vcc_lo, s3, v1, vcc_lo
	v_add_co_u32 v2, vcc_lo, s6, v2
	v_add_co_ci_u32_e32 v3, vcc_lo, s7, v3, vcc_lo
	global_load_u16 v4, v[0:1], off
	global_load_u16 v5, v[2:3], off
	s_clause 0x1
	s_load_b32 s2, s[0:1], 0x58
	s_load_b32 s0, s[0:1], 0x48
	s_waitcnt vmcnt(1) lgkmcnt(0)
	v_mul_f16_e32 v6, s2, v4
	s_waitcnt vmcnt(0)
	v_mul_f16_e32 v7, s2, v5
	s_delay_alu instid0(VALU_DEP_2) | instskip(NEXT) | instid1(VALU_DEP_2)
	v_fma_f16 v5, v5, s0, -v6
	v_fmac_f16_e32 v7, s0, v4
	global_store_b16 v[2:3], v5, off
	global_store_b16 v[0:1], v7, off
.LBB27_2:
	s_nop 0
	s_sendmsg sendmsg(MSG_DEALLOC_VGPRS)
	s_endpgm
	.section	.rodata,"a",@progbits
	.p2align	6, 0x0
	.amdhsa_kernel _ZL18rocblas_rot_kernelIiLi512EfPKPDF16_S2_DF16_DF16_EviT2_lllT3_lllT4_lT5_li
		.amdhsa_group_segment_fixed_size 0
		.amdhsa_private_segment_fixed_size 0
		.amdhsa_kernarg_size 368
		.amdhsa_user_sgpr_count 14
		.amdhsa_user_sgpr_dispatch_ptr 0
		.amdhsa_user_sgpr_queue_ptr 0
		.amdhsa_user_sgpr_kernarg_segment_ptr 1
		.amdhsa_user_sgpr_dispatch_id 0
		.amdhsa_user_sgpr_private_segment_size 0
		.amdhsa_wavefront_size32 1
		.amdhsa_uses_dynamic_stack 0
		.amdhsa_enable_private_segment 0
		.amdhsa_system_sgpr_workgroup_id_x 1
		.amdhsa_system_sgpr_workgroup_id_y 0
		.amdhsa_system_sgpr_workgroup_id_z 1
		.amdhsa_system_sgpr_workgroup_info 0
		.amdhsa_system_vgpr_workitem_id 0
		.amdhsa_next_free_vgpr 8
		.amdhsa_next_free_sgpr 16
		.amdhsa_reserve_vcc 1
		.amdhsa_float_round_mode_32 0
		.amdhsa_float_round_mode_16_64 0
		.amdhsa_float_denorm_mode_32 3
		.amdhsa_float_denorm_mode_16_64 3
		.amdhsa_dx10_clamp 1
		.amdhsa_ieee_mode 1
		.amdhsa_fp16_overflow 0
		.amdhsa_workgroup_processor_mode 1
		.amdhsa_memory_ordered 1
		.amdhsa_forward_progress 0
		.amdhsa_shared_vgpr_count 0
		.amdhsa_exception_fp_ieee_invalid_op 0
		.amdhsa_exception_fp_denorm_src 0
		.amdhsa_exception_fp_ieee_div_zero 0
		.amdhsa_exception_fp_ieee_overflow 0
		.amdhsa_exception_fp_ieee_underflow 0
		.amdhsa_exception_fp_ieee_inexact 0
		.amdhsa_exception_int_div_zero 0
	.end_amdhsa_kernel
	.section	.text._ZL18rocblas_rot_kernelIiLi512EfPKPDF16_S2_DF16_DF16_EviT2_lllT3_lllT4_lT5_li,"axG",@progbits,_ZL18rocblas_rot_kernelIiLi512EfPKPDF16_S2_DF16_DF16_EviT2_lllT3_lllT4_lT5_li,comdat
.Lfunc_end27:
	.size	_ZL18rocblas_rot_kernelIiLi512EfPKPDF16_S2_DF16_DF16_EviT2_lllT3_lllT4_lT5_li, .Lfunc_end27-_ZL18rocblas_rot_kernelIiLi512EfPKPDF16_S2_DF16_DF16_EviT2_lllT3_lllT4_lT5_li
                                        ; -- End function
	.section	.AMDGPU.csdata,"",@progbits
; Kernel info:
; codeLenInByte = 380
; NumSgprs: 18
; NumVgprs: 8
; ScratchSize: 0
; MemoryBound: 0
; FloatMode: 240
; IeeeMode: 1
; LDSByteSize: 0 bytes/workgroup (compile time only)
; SGPRBlocks: 2
; VGPRBlocks: 0
; NumSGPRsForWavesPerEU: 18
; NumVGPRsForWavesPerEU: 8
; Occupancy: 16
; WaveLimiterHint : 1
; COMPUTE_PGM_RSRC2:SCRATCH_EN: 0
; COMPUTE_PGM_RSRC2:USER_SGPR: 14
; COMPUTE_PGM_RSRC2:TRAP_HANDLER: 0
; COMPUTE_PGM_RSRC2:TGID_X_EN: 1
; COMPUTE_PGM_RSRC2:TGID_Y_EN: 0
; COMPUTE_PGM_RSRC2:TGID_Z_EN: 1
; COMPUTE_PGM_RSRC2:TIDIG_COMP_CNT: 0
	.section	.text._ZL18rocblas_rot_kernelIiLi512E19rocblas_complex_numIfEPKPS1_S4_PKfS6_EviT2_lllT3_lllT4_lT5_li,"axG",@progbits,_ZL18rocblas_rot_kernelIiLi512E19rocblas_complex_numIfEPKPS1_S4_PKfS6_EviT2_lllT3_lllT4_lT5_li,comdat
	.globl	_ZL18rocblas_rot_kernelIiLi512E19rocblas_complex_numIfEPKPS1_S4_PKfS6_EviT2_lllT3_lllT4_lT5_li ; -- Begin function _ZL18rocblas_rot_kernelIiLi512E19rocblas_complex_numIfEPKPS1_S4_PKfS6_EviT2_lllT3_lllT4_lT5_li
	.p2align	8
	.type	_ZL18rocblas_rot_kernelIiLi512E19rocblas_complex_numIfEPKPS1_S4_PKfS6_EviT2_lllT3_lllT4_lT5_li,@function
_ZL18rocblas_rot_kernelIiLi512E19rocblas_complex_numIfEPKPS1_S4_PKfS6_EviT2_lllT3_lllT4_lT5_li: ; @_ZL18rocblas_rot_kernelIiLi512E19rocblas_complex_numIfEPKPS1_S4_PKfS6_EviT2_lllT3_lllT4_lT5_li
; %bb.0:
	s_clause 0x1
	s_load_b32 s3, s[0:1], 0x7c
	s_load_b32 s4, s[0:1], 0x0
	s_waitcnt lgkmcnt(0)
	s_and_b32 s3, s3, 0xffff
	s_ashr_i32 s5, s4, 31
	v_mad_u64_u32 v[1:2], null, s14, s3, v[0:1]
	v_mov_b32_e32 v2, 0
	s_mov_b32 s3, exec_lo
	s_delay_alu instid0(VALU_DEP_1)
	v_cmpx_gt_i64_e64 s[4:5], v[1:2]
	s_cbranch_execz .LBB28_2
; %bb.1:
	s_mov_b32 s2, s15
	s_clause 0x2
	s_load_b128 s[4:7], s[0:1], 0x28
	s_load_b64 s[12:13], s[0:1], 0x38
	s_load_b64 s[14:15], s[0:1], 0x18
	s_mov_b32 s3, 0
	s_delay_alu instid0(SALU_CYCLE_1)
	s_lshl_b64 s[16:17], s[2:3], 3
	s_waitcnt lgkmcnt(0)
	s_add_u32 s4, s4, s16
	s_addc_u32 s5, s5, s17
	s_load_b64 s[4:5], s[4:5], 0x0
	s_load_b128 s[8:11], s[0:1], 0x8
	v_mad_u64_u32 v[2:3], null, v1, s12, 0
	v_mad_u64_u32 v[4:5], null, v1, s14, 0
	s_lshl_b64 s[6:7], s[6:7], 3
	s_delay_alu instid0(VALU_DEP_1) | instskip(NEXT) | instid1(VALU_DEP_1)
	v_dual_mov_b32 v0, v3 :: v_dual_mov_b32 v3, v5
	v_mad_u64_u32 v[5:6], null, v1, s13, v[0:1]
	s_delay_alu instid0(VALU_DEP_2)
	v_mad_u64_u32 v[6:7], null, v1, s15, v[3:4]
	s_waitcnt lgkmcnt(0)
	s_add_u32 s3, s4, s6
	s_addc_u32 s12, s5, s7
	s_add_u32 s4, s8, s16
	s_addc_u32 s5, s9, s17
	s_delay_alu instid0(VALU_DEP_2) | instskip(SKIP_3) | instid1(VALU_DEP_2)
	v_mov_b32_e32 v3, v5
	s_load_b64 s[4:5], s[4:5], 0x0
	v_mov_b32_e32 v5, v6
	s_lshl_b64 s[6:7], s[10:11], 3
	v_lshlrev_b64 v[0:1], 3, v[2:3]
	s_delay_alu instid0(VALU_DEP_2) | instskip(NEXT) | instid1(VALU_DEP_2)
	v_lshlrev_b64 v[2:3], 3, v[4:5]
	v_add_co_u32 v0, vcc_lo, s3, v0
	s_delay_alu instid0(VALU_DEP_3)
	v_add_co_ci_u32_e32 v1, vcc_lo, s12, v1, vcc_lo
	s_waitcnt lgkmcnt(0)
	s_add_u32 s3, s4, s6
	s_addc_u32 s4, s5, s7
	v_add_co_u32 v2, vcc_lo, s3, v2
	v_add_co_ci_u32_e32 v3, vcc_lo, s4, v3, vcc_lo
	s_load_b256 s[4:11], s[0:1], 0x48
	global_load_b64 v[4:5], v[0:1], off
	global_load_b64 v[6:7], v[2:3], off
	s_waitcnt lgkmcnt(0)
	s_mul_i32 s1, s2, s11
	s_mul_hi_u32 s3, s2, s10
	s_mul_i32 s0, s2, s10
	s_add_i32 s1, s3, s1
	s_mul_i32 s7, s2, s7
	s_lshl_b64 s[0:1], s[0:1], 2
	s_mul_hi_u32 s3, s2, s6
	s_add_u32 s0, s8, s0
	s_mul_i32 s2, s2, s6
	s_addc_u32 s1, s9, s1
	s_add_i32 s3, s3, s7
	s_load_b32 s6, s[0:1], 0x0
	s_lshl_b64 s[0:1], s[2:3], 2
	s_delay_alu instid0(SALU_CYCLE_1)
	s_add_u32 s0, s4, s0
	s_addc_u32 s1, s5, s1
	s_load_b32 s0, s[0:1], 0x0
	s_waitcnt vmcnt(1) lgkmcnt(0)
	v_mul_f32_e32 v8, s6, v4
	s_waitcnt vmcnt(0)
	v_dual_mul_f32 v10, s6, v6 :: v_dual_mul_f32 v11, s6, v7
	s_delay_alu instid0(VALU_DEP_2) | instskip(NEXT) | instid1(VALU_DEP_2)
	v_dual_mul_f32 v9, s6, v5 :: v_dual_fmac_f32 v8, s0, v6
	v_fma_f32 v4, s0, v4, -v10
	s_delay_alu instid0(VALU_DEP_3) | instskip(NEXT) | instid1(VALU_DEP_3)
	v_fma_f32 v5, s0, v5, -v11
	v_fmac_f32_e32 v9, s0, v7
	global_store_b64 v[0:1], v[4:5], off
	global_store_b64 v[2:3], v[8:9], off
.LBB28_2:
	s_nop 0
	s_sendmsg sendmsg(MSG_DEALLOC_VGPRS)
	s_endpgm
	.section	.rodata,"a",@progbits
	.p2align	6, 0x0
	.amdhsa_kernel _ZL18rocblas_rot_kernelIiLi512E19rocblas_complex_numIfEPKPS1_S4_PKfS6_EviT2_lllT3_lllT4_lT5_li
		.amdhsa_group_segment_fixed_size 0
		.amdhsa_private_segment_fixed_size 0
		.amdhsa_kernarg_size 368
		.amdhsa_user_sgpr_count 14
		.amdhsa_user_sgpr_dispatch_ptr 0
		.amdhsa_user_sgpr_queue_ptr 0
		.amdhsa_user_sgpr_kernarg_segment_ptr 1
		.amdhsa_user_sgpr_dispatch_id 0
		.amdhsa_user_sgpr_private_segment_size 0
		.amdhsa_wavefront_size32 1
		.amdhsa_uses_dynamic_stack 0
		.amdhsa_enable_private_segment 0
		.amdhsa_system_sgpr_workgroup_id_x 1
		.amdhsa_system_sgpr_workgroup_id_y 0
		.amdhsa_system_sgpr_workgroup_id_z 1
		.amdhsa_system_sgpr_workgroup_info 0
		.amdhsa_system_vgpr_workitem_id 0
		.amdhsa_next_free_vgpr 12
		.amdhsa_next_free_sgpr 18
		.amdhsa_reserve_vcc 1
		.amdhsa_float_round_mode_32 0
		.amdhsa_float_round_mode_16_64 0
		.amdhsa_float_denorm_mode_32 3
		.amdhsa_float_denorm_mode_16_64 3
		.amdhsa_dx10_clamp 1
		.amdhsa_ieee_mode 1
		.amdhsa_fp16_overflow 0
		.amdhsa_workgroup_processor_mode 1
		.amdhsa_memory_ordered 1
		.amdhsa_forward_progress 0
		.amdhsa_shared_vgpr_count 0
		.amdhsa_exception_fp_ieee_invalid_op 0
		.amdhsa_exception_fp_denorm_src 0
		.amdhsa_exception_fp_ieee_div_zero 0
		.amdhsa_exception_fp_ieee_overflow 0
		.amdhsa_exception_fp_ieee_underflow 0
		.amdhsa_exception_fp_ieee_inexact 0
		.amdhsa_exception_int_div_zero 0
	.end_amdhsa_kernel
	.section	.text._ZL18rocblas_rot_kernelIiLi512E19rocblas_complex_numIfEPKPS1_S4_PKfS6_EviT2_lllT3_lllT4_lT5_li,"axG",@progbits,_ZL18rocblas_rot_kernelIiLi512E19rocblas_complex_numIfEPKPS1_S4_PKfS6_EviT2_lllT3_lllT4_lT5_li,comdat
.Lfunc_end28:
	.size	_ZL18rocblas_rot_kernelIiLi512E19rocblas_complex_numIfEPKPS1_S4_PKfS6_EviT2_lllT3_lllT4_lT5_li, .Lfunc_end28-_ZL18rocblas_rot_kernelIiLi512E19rocblas_complex_numIfEPKPS1_S4_PKfS6_EviT2_lllT3_lllT4_lT5_li
                                        ; -- End function
	.section	.AMDGPU.csdata,"",@progbits
; Kernel info:
; codeLenInByte = 484
; NumSgprs: 20
; NumVgprs: 12
; ScratchSize: 0
; MemoryBound: 0
; FloatMode: 240
; IeeeMode: 1
; LDSByteSize: 0 bytes/workgroup (compile time only)
; SGPRBlocks: 2
; VGPRBlocks: 1
; NumSGPRsForWavesPerEU: 20
; NumVGPRsForWavesPerEU: 12
; Occupancy: 16
; WaveLimiterHint : 1
; COMPUTE_PGM_RSRC2:SCRATCH_EN: 0
; COMPUTE_PGM_RSRC2:USER_SGPR: 14
; COMPUTE_PGM_RSRC2:TRAP_HANDLER: 0
; COMPUTE_PGM_RSRC2:TGID_X_EN: 1
; COMPUTE_PGM_RSRC2:TGID_Y_EN: 0
; COMPUTE_PGM_RSRC2:TGID_Z_EN: 1
; COMPUTE_PGM_RSRC2:TIDIG_COMP_CNT: 0
	.section	.text._ZL18rocblas_rot_kernelIiLi512E19rocblas_complex_numIfEPKPS1_S4_ffEviT2_lllT3_lllT4_lT5_li,"axG",@progbits,_ZL18rocblas_rot_kernelIiLi512E19rocblas_complex_numIfEPKPS1_S4_ffEviT2_lllT3_lllT4_lT5_li,comdat
	.globl	_ZL18rocblas_rot_kernelIiLi512E19rocblas_complex_numIfEPKPS1_S4_ffEviT2_lllT3_lllT4_lT5_li ; -- Begin function _ZL18rocblas_rot_kernelIiLi512E19rocblas_complex_numIfEPKPS1_S4_ffEviT2_lllT3_lllT4_lT5_li
	.p2align	8
	.type	_ZL18rocblas_rot_kernelIiLi512E19rocblas_complex_numIfEPKPS1_S4_ffEviT2_lllT3_lllT4_lT5_li,@function
_ZL18rocblas_rot_kernelIiLi512E19rocblas_complex_numIfEPKPS1_S4_ffEviT2_lllT3_lllT4_lT5_li: ; @_ZL18rocblas_rot_kernelIiLi512E19rocblas_complex_numIfEPKPS1_S4_ffEviT2_lllT3_lllT4_lT5_li
; %bb.0:
	s_clause 0x1
	s_load_b32 s3, s[0:1], 0x7c
	s_load_b32 s4, s[0:1], 0x0
	s_waitcnt lgkmcnt(0)
	s_and_b32 s3, s3, 0xffff
	s_ashr_i32 s5, s4, 31
	v_mad_u64_u32 v[1:2], null, s14, s3, v[0:1]
	v_mov_b32_e32 v2, 0
	s_mov_b32 s3, exec_lo
	s_delay_alu instid0(VALU_DEP_1)
	v_cmpx_gt_i64_e64 s[4:5], v[1:2]
	s_cbranch_execz .LBB29_2
; %bb.1:
	s_mov_b32 s2, s15
	s_clause 0x2
	s_load_b128 s[4:7], s[0:1], 0x28
	s_load_b64 s[12:13], s[0:1], 0x38
	s_load_b64 s[14:15], s[0:1], 0x18
	s_mov_b32 s3, 0
	s_delay_alu instid0(SALU_CYCLE_1)
	s_lshl_b64 s[2:3], s[2:3], 3
	s_waitcnt lgkmcnt(0)
	s_add_u32 s4, s4, s2
	s_addc_u32 s5, s5, s3
	s_load_b64 s[4:5], s[4:5], 0x0
	s_load_b128 s[8:11], s[0:1], 0x8
	v_mad_u64_u32 v[2:3], null, v1, s12, 0
	v_mad_u64_u32 v[4:5], null, v1, s14, 0
	s_lshl_b64 s[6:7], s[6:7], 3
	s_delay_alu instid0(VALU_DEP_1) | instskip(NEXT) | instid1(VALU_DEP_1)
	v_dual_mov_b32 v0, v3 :: v_dual_mov_b32 v3, v5
	v_mad_u64_u32 v[5:6], null, v1, s13, v[0:1]
	s_delay_alu instid0(VALU_DEP_2)
	v_mad_u64_u32 v[6:7], null, v1, s15, v[3:4]
	s_waitcnt lgkmcnt(0)
	s_add_u32 s6, s4, s6
	s_addc_u32 s7, s5, s7
	s_add_u32 s2, s8, s2
	s_addc_u32 s3, s9, s3
	s_delay_alu instid0(VALU_DEP_2) | instskip(SKIP_3) | instid1(VALU_DEP_2)
	v_mov_b32_e32 v3, v5
	s_load_b64 s[2:3], s[2:3], 0x0
	v_mov_b32_e32 v5, v6
	s_lshl_b64 s[4:5], s[10:11], 3
	v_lshlrev_b64 v[0:1], 3, v[2:3]
	s_delay_alu instid0(VALU_DEP_2) | instskip(NEXT) | instid1(VALU_DEP_2)
	v_lshlrev_b64 v[2:3], 3, v[4:5]
	v_add_co_u32 v0, vcc_lo, s6, v0
	s_delay_alu instid0(VALU_DEP_3)
	v_add_co_ci_u32_e32 v1, vcc_lo, s7, v1, vcc_lo
	s_waitcnt lgkmcnt(0)
	s_add_u32 s2, s2, s4
	s_addc_u32 s3, s3, s5
	v_add_co_u32 v2, vcc_lo, s2, v2
	v_add_co_ci_u32_e32 v3, vcc_lo, s3, v3, vcc_lo
	global_load_b64 v[4:5], v[0:1], off
	global_load_b64 v[6:7], v[2:3], off
	s_clause 0x1
	s_load_b32 s2, s[0:1], 0x58
	s_load_b32 s0, s[0:1], 0x48
	s_waitcnt vmcnt(1) lgkmcnt(0)
	v_mul_f32_e32 v8, s2, v4
	s_waitcnt vmcnt(0)
	v_dual_mul_f32 v10, s2, v6 :: v_dual_mul_f32 v11, s2, v7
	s_delay_alu instid0(VALU_DEP_2) | instskip(NEXT) | instid1(VALU_DEP_2)
	v_dual_mul_f32 v9, s2, v5 :: v_dual_fmac_f32 v8, s0, v6
	v_fma_f32 v4, v4, s0, -v10
	s_delay_alu instid0(VALU_DEP_3) | instskip(NEXT) | instid1(VALU_DEP_3)
	v_fma_f32 v5, v5, s0, -v11
	v_fmac_f32_e32 v9, s0, v7
	global_store_b64 v[0:1], v[4:5], off
	global_store_b64 v[2:3], v[8:9], off
.LBB29_2:
	s_nop 0
	s_sendmsg sendmsg(MSG_DEALLOC_VGPRS)
	s_endpgm
	.section	.rodata,"a",@progbits
	.p2align	6, 0x0
	.amdhsa_kernel _ZL18rocblas_rot_kernelIiLi512E19rocblas_complex_numIfEPKPS1_S4_ffEviT2_lllT3_lllT4_lT5_li
		.amdhsa_group_segment_fixed_size 0
		.amdhsa_private_segment_fixed_size 0
		.amdhsa_kernarg_size 368
		.amdhsa_user_sgpr_count 14
		.amdhsa_user_sgpr_dispatch_ptr 0
		.amdhsa_user_sgpr_queue_ptr 0
		.amdhsa_user_sgpr_kernarg_segment_ptr 1
		.amdhsa_user_sgpr_dispatch_id 0
		.amdhsa_user_sgpr_private_segment_size 0
		.amdhsa_wavefront_size32 1
		.amdhsa_uses_dynamic_stack 0
		.amdhsa_enable_private_segment 0
		.amdhsa_system_sgpr_workgroup_id_x 1
		.amdhsa_system_sgpr_workgroup_id_y 0
		.amdhsa_system_sgpr_workgroup_id_z 1
		.amdhsa_system_sgpr_workgroup_info 0
		.amdhsa_system_vgpr_workitem_id 0
		.amdhsa_next_free_vgpr 12
		.amdhsa_next_free_sgpr 16
		.amdhsa_reserve_vcc 1
		.amdhsa_float_round_mode_32 0
		.amdhsa_float_round_mode_16_64 0
		.amdhsa_float_denorm_mode_32 3
		.amdhsa_float_denorm_mode_16_64 3
		.amdhsa_dx10_clamp 1
		.amdhsa_ieee_mode 1
		.amdhsa_fp16_overflow 0
		.amdhsa_workgroup_processor_mode 1
		.amdhsa_memory_ordered 1
		.amdhsa_forward_progress 0
		.amdhsa_shared_vgpr_count 0
		.amdhsa_exception_fp_ieee_invalid_op 0
		.amdhsa_exception_fp_denorm_src 0
		.amdhsa_exception_fp_ieee_div_zero 0
		.amdhsa_exception_fp_ieee_overflow 0
		.amdhsa_exception_fp_ieee_underflow 0
		.amdhsa_exception_fp_ieee_inexact 0
		.amdhsa_exception_int_div_zero 0
	.end_amdhsa_kernel
	.section	.text._ZL18rocblas_rot_kernelIiLi512E19rocblas_complex_numIfEPKPS1_S4_ffEviT2_lllT3_lllT4_lT5_li,"axG",@progbits,_ZL18rocblas_rot_kernelIiLi512E19rocblas_complex_numIfEPKPS1_S4_ffEviT2_lllT3_lllT4_lT5_li,comdat
.Lfunc_end29:
	.size	_ZL18rocblas_rot_kernelIiLi512E19rocblas_complex_numIfEPKPS1_S4_ffEviT2_lllT3_lllT4_lT5_li, .Lfunc_end29-_ZL18rocblas_rot_kernelIiLi512E19rocblas_complex_numIfEPKPS1_S4_ffEviT2_lllT3_lllT4_lT5_li
                                        ; -- End function
	.section	.AMDGPU.csdata,"",@progbits
; Kernel info:
; codeLenInByte = 416
; NumSgprs: 18
; NumVgprs: 12
; ScratchSize: 0
; MemoryBound: 0
; FloatMode: 240
; IeeeMode: 1
; LDSByteSize: 0 bytes/workgroup (compile time only)
; SGPRBlocks: 2
; VGPRBlocks: 1
; NumSGPRsForWavesPerEU: 18
; NumVGPRsForWavesPerEU: 12
; Occupancy: 16
; WaveLimiterHint : 1
; COMPUTE_PGM_RSRC2:SCRATCH_EN: 0
; COMPUTE_PGM_RSRC2:USER_SGPR: 14
; COMPUTE_PGM_RSRC2:TRAP_HANDLER: 0
; COMPUTE_PGM_RSRC2:TGID_X_EN: 1
; COMPUTE_PGM_RSRC2:TGID_Y_EN: 0
; COMPUTE_PGM_RSRC2:TGID_Z_EN: 1
; COMPUTE_PGM_RSRC2:TIDIG_COMP_CNT: 0
	.section	.text._ZL18rocblas_rot_kernelIiLi512E19rocblas_complex_numIfEPKPS1_S4_PKfPKS1_EviT2_lllT3_lllT4_lT5_li,"axG",@progbits,_ZL18rocblas_rot_kernelIiLi512E19rocblas_complex_numIfEPKPS1_S4_PKfPKS1_EviT2_lllT3_lllT4_lT5_li,comdat
	.globl	_ZL18rocblas_rot_kernelIiLi512E19rocblas_complex_numIfEPKPS1_S4_PKfPKS1_EviT2_lllT3_lllT4_lT5_li ; -- Begin function _ZL18rocblas_rot_kernelIiLi512E19rocblas_complex_numIfEPKPS1_S4_PKfPKS1_EviT2_lllT3_lllT4_lT5_li
	.p2align	8
	.type	_ZL18rocblas_rot_kernelIiLi512E19rocblas_complex_numIfEPKPS1_S4_PKfPKS1_EviT2_lllT3_lllT4_lT5_li,@function
_ZL18rocblas_rot_kernelIiLi512E19rocblas_complex_numIfEPKPS1_S4_PKfPKS1_EviT2_lllT3_lllT4_lT5_li: ; @_ZL18rocblas_rot_kernelIiLi512E19rocblas_complex_numIfEPKPS1_S4_PKfPKS1_EviT2_lllT3_lllT4_lT5_li
; %bb.0:
	s_clause 0x1
	s_load_b32 s3, s[0:1], 0x7c
	s_load_b32 s4, s[0:1], 0x0
	s_waitcnt lgkmcnt(0)
	s_and_b32 s3, s3, 0xffff
	s_ashr_i32 s5, s4, 31
	v_mad_u64_u32 v[1:2], null, s14, s3, v[0:1]
	v_mov_b32_e32 v2, 0
	s_mov_b32 s3, exec_lo
	s_delay_alu instid0(VALU_DEP_1)
	v_cmpx_gt_i64_e64 s[4:5], v[1:2]
	s_cbranch_execz .LBB30_2
; %bb.1:
	s_mov_b32 s2, s15
	s_clause 0x2
	s_load_b128 s[4:7], s[0:1], 0x28
	s_load_b64 s[12:13], s[0:1], 0x38
	s_load_b64 s[14:15], s[0:1], 0x18
	s_mov_b32 s3, 0
	s_delay_alu instid0(SALU_CYCLE_1)
	s_lshl_b64 s[16:17], s[2:3], 3
	s_waitcnt lgkmcnt(0)
	s_add_u32 s4, s4, s16
	s_addc_u32 s5, s5, s17
	s_load_b64 s[4:5], s[4:5], 0x0
	s_load_b128 s[8:11], s[0:1], 0x8
	v_mad_u64_u32 v[2:3], null, v1, s12, 0
	v_mad_u64_u32 v[4:5], null, v1, s14, 0
	s_lshl_b64 s[6:7], s[6:7], 3
	s_delay_alu instid0(VALU_DEP_1) | instskip(NEXT) | instid1(VALU_DEP_1)
	v_dual_mov_b32 v0, v3 :: v_dual_mov_b32 v3, v5
	v_mad_u64_u32 v[5:6], null, v1, s13, v[0:1]
	s_delay_alu instid0(VALU_DEP_2)
	v_mad_u64_u32 v[6:7], null, v1, s15, v[3:4]
	s_waitcnt lgkmcnt(0)
	s_add_u32 s3, s4, s6
	s_addc_u32 s12, s5, s7
	s_add_u32 s4, s8, s16
	s_addc_u32 s5, s9, s17
	s_delay_alu instid0(VALU_DEP_2) | instskip(SKIP_3) | instid1(VALU_DEP_2)
	v_mov_b32_e32 v3, v5
	s_load_b64 s[4:5], s[4:5], 0x0
	v_mov_b32_e32 v5, v6
	s_lshl_b64 s[6:7], s[10:11], 3
	v_lshlrev_b64 v[0:1], 3, v[2:3]
	s_delay_alu instid0(VALU_DEP_2) | instskip(NEXT) | instid1(VALU_DEP_2)
	v_lshlrev_b64 v[2:3], 3, v[4:5]
	v_add_co_u32 v0, vcc_lo, s3, v0
	s_delay_alu instid0(VALU_DEP_3)
	v_add_co_ci_u32_e32 v1, vcc_lo, s12, v1, vcc_lo
	s_waitcnt lgkmcnt(0)
	s_add_u32 s3, s4, s6
	s_addc_u32 s4, s5, s7
	v_add_co_u32 v2, vcc_lo, s3, v2
	v_add_co_ci_u32_e32 v3, vcc_lo, s4, v3, vcc_lo
	s_load_b256 s[4:11], s[0:1], 0x48
	global_load_b64 v[4:5], v[0:1], off
	global_load_b64 v[6:7], v[2:3], off
	s_waitcnt lgkmcnt(0)
	s_mul_i32 s1, s2, s11
	s_mul_hi_u32 s3, s2, s10
	s_mul_i32 s0, s2, s10
	s_add_i32 s1, s3, s1
	s_mul_i32 s3, s2, s7
	s_lshl_b64 s[0:1], s[0:1], 3
	s_mul_hi_u32 s7, s2, s6
	s_add_u32 s0, s8, s0
	s_addc_u32 s1, s9, s1
	s_mul_i32 s2, s2, s6
	s_load_b64 s[0:1], s[0:1], 0x0
	s_add_i32 s3, s7, s3
	s_delay_alu instid0(SALU_CYCLE_1) | instskip(NEXT) | instid1(SALU_CYCLE_1)
	s_lshl_b64 s[2:3], s[2:3], 2
	s_add_u32 s2, s4, s2
	s_addc_u32 s3, s5, s3
	s_load_b32 s2, s[2:3], 0x0
	s_waitcnt vmcnt(1) lgkmcnt(0)
	v_mul_f32_e32 v8, s1, v5
	s_waitcnt vmcnt(0)
	v_dual_mul_f32 v10, s1, v7 :: v_dual_mul_f32 v11, s1, v6
	v_mul_f32_e32 v9, s0, v5
	s_delay_alu instid0(VALU_DEP_3) | instskip(NEXT) | instid1(VALU_DEP_3)
	v_fma_f32 v8, s0, v4, -v8
	v_fmac_f32_e32 v10, s0, v6
	s_delay_alu instid0(VALU_DEP_4) | instskip(NEXT) | instid1(VALU_DEP_3)
	v_fma_f32 v11, s0, v7, -v11
	v_dual_fmac_f32 v9, s1, v4 :: v_dual_fmac_f32 v8, s2, v6
	s_delay_alu instid0(VALU_DEP_3) | instskip(NEXT) | instid1(VALU_DEP_3)
	v_fma_f32 v4, s2, v4, -v10
	v_fma_f32 v5, s2, v5, -v11
	s_delay_alu instid0(VALU_DEP_3)
	v_fmac_f32_e32 v9, s2, v7
	global_store_b64 v[0:1], v[4:5], off
	global_store_b64 v[2:3], v[8:9], off
.LBB30_2:
	s_nop 0
	s_sendmsg sendmsg(MSG_DEALLOC_VGPRS)
	s_endpgm
	.section	.rodata,"a",@progbits
	.p2align	6, 0x0
	.amdhsa_kernel _ZL18rocblas_rot_kernelIiLi512E19rocblas_complex_numIfEPKPS1_S4_PKfPKS1_EviT2_lllT3_lllT4_lT5_li
		.amdhsa_group_segment_fixed_size 0
		.amdhsa_private_segment_fixed_size 0
		.amdhsa_kernarg_size 368
		.amdhsa_user_sgpr_count 14
		.amdhsa_user_sgpr_dispatch_ptr 0
		.amdhsa_user_sgpr_queue_ptr 0
		.amdhsa_user_sgpr_kernarg_segment_ptr 1
		.amdhsa_user_sgpr_dispatch_id 0
		.amdhsa_user_sgpr_private_segment_size 0
		.amdhsa_wavefront_size32 1
		.amdhsa_uses_dynamic_stack 0
		.amdhsa_enable_private_segment 0
		.amdhsa_system_sgpr_workgroup_id_x 1
		.amdhsa_system_sgpr_workgroup_id_y 0
		.amdhsa_system_sgpr_workgroup_id_z 1
		.amdhsa_system_sgpr_workgroup_info 0
		.amdhsa_system_vgpr_workitem_id 0
		.amdhsa_next_free_vgpr 12
		.amdhsa_next_free_sgpr 18
		.amdhsa_reserve_vcc 1
		.amdhsa_float_round_mode_32 0
		.amdhsa_float_round_mode_16_64 0
		.amdhsa_float_denorm_mode_32 3
		.amdhsa_float_denorm_mode_16_64 3
		.amdhsa_dx10_clamp 1
		.amdhsa_ieee_mode 1
		.amdhsa_fp16_overflow 0
		.amdhsa_workgroup_processor_mode 1
		.amdhsa_memory_ordered 1
		.amdhsa_forward_progress 0
		.amdhsa_shared_vgpr_count 0
		.amdhsa_exception_fp_ieee_invalid_op 0
		.amdhsa_exception_fp_denorm_src 0
		.amdhsa_exception_fp_ieee_div_zero 0
		.amdhsa_exception_fp_ieee_overflow 0
		.amdhsa_exception_fp_ieee_underflow 0
		.amdhsa_exception_fp_ieee_inexact 0
		.amdhsa_exception_int_div_zero 0
	.end_amdhsa_kernel
	.section	.text._ZL18rocblas_rot_kernelIiLi512E19rocblas_complex_numIfEPKPS1_S4_PKfPKS1_EviT2_lllT3_lllT4_lT5_li,"axG",@progbits,_ZL18rocblas_rot_kernelIiLi512E19rocblas_complex_numIfEPKPS1_S4_PKfPKS1_EviT2_lllT3_lllT4_lT5_li,comdat
.Lfunc_end30:
	.size	_ZL18rocblas_rot_kernelIiLi512E19rocblas_complex_numIfEPKPS1_S4_PKfPKS1_EviT2_lllT3_lllT4_lT5_li, .Lfunc_end30-_ZL18rocblas_rot_kernelIiLi512E19rocblas_complex_numIfEPKPS1_S4_PKfPKS1_EviT2_lllT3_lllT4_lT5_li
                                        ; -- End function
	.section	.AMDGPU.csdata,"",@progbits
; Kernel info:
; codeLenInByte = 516
; NumSgprs: 20
; NumVgprs: 12
; ScratchSize: 0
; MemoryBound: 0
; FloatMode: 240
; IeeeMode: 1
; LDSByteSize: 0 bytes/workgroup (compile time only)
; SGPRBlocks: 2
; VGPRBlocks: 1
; NumSGPRsForWavesPerEU: 20
; NumVGPRsForWavesPerEU: 12
; Occupancy: 16
; WaveLimiterHint : 1
; COMPUTE_PGM_RSRC2:SCRATCH_EN: 0
; COMPUTE_PGM_RSRC2:USER_SGPR: 14
; COMPUTE_PGM_RSRC2:TRAP_HANDLER: 0
; COMPUTE_PGM_RSRC2:TGID_X_EN: 1
; COMPUTE_PGM_RSRC2:TGID_Y_EN: 0
; COMPUTE_PGM_RSRC2:TGID_Z_EN: 1
; COMPUTE_PGM_RSRC2:TIDIG_COMP_CNT: 0
	.section	.text._ZL18rocblas_rot_kernelIiLi512E19rocblas_complex_numIfEPKPS1_S4_fS1_EviT2_lllT3_lllT4_lT5_li,"axG",@progbits,_ZL18rocblas_rot_kernelIiLi512E19rocblas_complex_numIfEPKPS1_S4_fS1_EviT2_lllT3_lllT4_lT5_li,comdat
	.globl	_ZL18rocblas_rot_kernelIiLi512E19rocblas_complex_numIfEPKPS1_S4_fS1_EviT2_lllT3_lllT4_lT5_li ; -- Begin function _ZL18rocblas_rot_kernelIiLi512E19rocblas_complex_numIfEPKPS1_S4_fS1_EviT2_lllT3_lllT4_lT5_li
	.p2align	8
	.type	_ZL18rocblas_rot_kernelIiLi512E19rocblas_complex_numIfEPKPS1_S4_fS1_EviT2_lllT3_lllT4_lT5_li,@function
_ZL18rocblas_rot_kernelIiLi512E19rocblas_complex_numIfEPKPS1_S4_fS1_EviT2_lllT3_lllT4_lT5_li: ; @_ZL18rocblas_rot_kernelIiLi512E19rocblas_complex_numIfEPKPS1_S4_fS1_EviT2_lllT3_lllT4_lT5_li
; %bb.0:
	s_clause 0x1
	s_load_b32 s3, s[0:1], 0x7c
	s_load_b32 s4, s[0:1], 0x0
	s_waitcnt lgkmcnt(0)
	s_and_b32 s3, s3, 0xffff
	s_ashr_i32 s5, s4, 31
	v_mad_u64_u32 v[1:2], null, s14, s3, v[0:1]
	v_mov_b32_e32 v2, 0
	s_mov_b32 s3, exec_lo
	s_delay_alu instid0(VALU_DEP_1)
	v_cmpx_gt_i64_e64 s[4:5], v[1:2]
	s_cbranch_execz .LBB31_2
; %bb.1:
	s_mov_b32 s2, s15
	s_clause 0x2
	s_load_b128 s[4:7], s[0:1], 0x28
	s_load_b64 s[12:13], s[0:1], 0x38
	s_load_b64 s[14:15], s[0:1], 0x18
	s_mov_b32 s3, 0
	s_delay_alu instid0(SALU_CYCLE_1)
	s_lshl_b64 s[2:3], s[2:3], 3
	s_waitcnt lgkmcnt(0)
	s_add_u32 s4, s4, s2
	s_addc_u32 s5, s5, s3
	s_load_b64 s[4:5], s[4:5], 0x0
	s_load_b128 s[8:11], s[0:1], 0x8
	v_mad_u64_u32 v[2:3], null, v1, s12, 0
	v_mad_u64_u32 v[4:5], null, v1, s14, 0
	s_lshl_b64 s[6:7], s[6:7], 3
	s_delay_alu instid0(VALU_DEP_1) | instskip(NEXT) | instid1(VALU_DEP_1)
	v_dual_mov_b32 v0, v3 :: v_dual_mov_b32 v3, v5
	v_mad_u64_u32 v[5:6], null, v1, s13, v[0:1]
	s_delay_alu instid0(VALU_DEP_2)
	v_mad_u64_u32 v[6:7], null, v1, s15, v[3:4]
	s_waitcnt lgkmcnt(0)
	s_add_u32 s6, s4, s6
	s_addc_u32 s7, s5, s7
	s_add_u32 s2, s8, s2
	s_addc_u32 s3, s9, s3
	s_delay_alu instid0(VALU_DEP_2) | instskip(SKIP_3) | instid1(VALU_DEP_2)
	v_mov_b32_e32 v3, v5
	s_load_b64 s[2:3], s[2:3], 0x0
	v_mov_b32_e32 v5, v6
	s_lshl_b64 s[4:5], s[10:11], 3
	v_lshlrev_b64 v[0:1], 3, v[2:3]
	s_delay_alu instid0(VALU_DEP_2) | instskip(NEXT) | instid1(VALU_DEP_2)
	v_lshlrev_b64 v[2:3], 3, v[4:5]
	v_add_co_u32 v0, vcc_lo, s6, v0
	s_delay_alu instid0(VALU_DEP_3)
	v_add_co_ci_u32_e32 v1, vcc_lo, s7, v1, vcc_lo
	s_waitcnt lgkmcnt(0)
	s_add_u32 s2, s2, s4
	s_addc_u32 s3, s3, s5
	v_add_co_u32 v2, vcc_lo, s2, v2
	v_add_co_ci_u32_e32 v3, vcc_lo, s3, v3, vcc_lo
	global_load_b64 v[4:5], v[0:1], off
	global_load_b64 v[6:7], v[2:3], off
	s_clause 0x1
	s_load_b64 s[2:3], s[0:1], 0x58
	s_load_b32 s0, s[0:1], 0x48
	s_waitcnt vmcnt(1) lgkmcnt(0)
	v_mul_f32_e32 v8, s3, v5
	s_waitcnt vmcnt(0)
	v_dual_mul_f32 v10, s3, v7 :: v_dual_mul_f32 v11, s3, v6
	v_mul_f32_e32 v9, s2, v5
	s_delay_alu instid0(VALU_DEP_3) | instskip(NEXT) | instid1(VALU_DEP_3)
	v_fma_f32 v8, s2, v4, -v8
	v_fmac_f32_e32 v10, s2, v6
	s_delay_alu instid0(VALU_DEP_4) | instskip(NEXT) | instid1(VALU_DEP_3)
	v_fma_f32 v11, s2, v7, -v11
	v_dual_fmac_f32 v9, s3, v4 :: v_dual_fmac_f32 v8, s0, v6
	s_delay_alu instid0(VALU_DEP_3) | instskip(NEXT) | instid1(VALU_DEP_3)
	v_fma_f32 v4, v4, s0, -v10
	v_fma_f32 v5, v5, s0, -v11
	s_delay_alu instid0(VALU_DEP_3)
	v_fmac_f32_e32 v9, s0, v7
	global_store_b64 v[0:1], v[4:5], off
	global_store_b64 v[2:3], v[8:9], off
.LBB31_2:
	s_nop 0
	s_sendmsg sendmsg(MSG_DEALLOC_VGPRS)
	s_endpgm
	.section	.rodata,"a",@progbits
	.p2align	6, 0x0
	.amdhsa_kernel _ZL18rocblas_rot_kernelIiLi512E19rocblas_complex_numIfEPKPS1_S4_fS1_EviT2_lllT3_lllT4_lT5_li
		.amdhsa_group_segment_fixed_size 0
		.amdhsa_private_segment_fixed_size 0
		.amdhsa_kernarg_size 368
		.amdhsa_user_sgpr_count 14
		.amdhsa_user_sgpr_dispatch_ptr 0
		.amdhsa_user_sgpr_queue_ptr 0
		.amdhsa_user_sgpr_kernarg_segment_ptr 1
		.amdhsa_user_sgpr_dispatch_id 0
		.amdhsa_user_sgpr_private_segment_size 0
		.amdhsa_wavefront_size32 1
		.amdhsa_uses_dynamic_stack 0
		.amdhsa_enable_private_segment 0
		.amdhsa_system_sgpr_workgroup_id_x 1
		.amdhsa_system_sgpr_workgroup_id_y 0
		.amdhsa_system_sgpr_workgroup_id_z 1
		.amdhsa_system_sgpr_workgroup_info 0
		.amdhsa_system_vgpr_workitem_id 0
		.amdhsa_next_free_vgpr 12
		.amdhsa_next_free_sgpr 16
		.amdhsa_reserve_vcc 1
		.amdhsa_float_round_mode_32 0
		.amdhsa_float_round_mode_16_64 0
		.amdhsa_float_denorm_mode_32 3
		.amdhsa_float_denorm_mode_16_64 3
		.amdhsa_dx10_clamp 1
		.amdhsa_ieee_mode 1
		.amdhsa_fp16_overflow 0
		.amdhsa_workgroup_processor_mode 1
		.amdhsa_memory_ordered 1
		.amdhsa_forward_progress 0
		.amdhsa_shared_vgpr_count 0
		.amdhsa_exception_fp_ieee_invalid_op 0
		.amdhsa_exception_fp_denorm_src 0
		.amdhsa_exception_fp_ieee_div_zero 0
		.amdhsa_exception_fp_ieee_overflow 0
		.amdhsa_exception_fp_ieee_underflow 0
		.amdhsa_exception_fp_ieee_inexact 0
		.amdhsa_exception_int_div_zero 0
	.end_amdhsa_kernel
	.section	.text._ZL18rocblas_rot_kernelIiLi512E19rocblas_complex_numIfEPKPS1_S4_fS1_EviT2_lllT3_lllT4_lT5_li,"axG",@progbits,_ZL18rocblas_rot_kernelIiLi512E19rocblas_complex_numIfEPKPS1_S4_fS1_EviT2_lllT3_lllT4_lT5_li,comdat
.Lfunc_end31:
	.size	_ZL18rocblas_rot_kernelIiLi512E19rocblas_complex_numIfEPKPS1_S4_fS1_EviT2_lllT3_lllT4_lT5_li, .Lfunc_end31-_ZL18rocblas_rot_kernelIiLi512E19rocblas_complex_numIfEPKPS1_S4_fS1_EviT2_lllT3_lllT4_lT5_li
                                        ; -- End function
	.section	.AMDGPU.csdata,"",@progbits
; Kernel info:
; codeLenInByte = 448
; NumSgprs: 18
; NumVgprs: 12
; ScratchSize: 0
; MemoryBound: 0
; FloatMode: 240
; IeeeMode: 1
; LDSByteSize: 0 bytes/workgroup (compile time only)
; SGPRBlocks: 2
; VGPRBlocks: 1
; NumSGPRsForWavesPerEU: 18
; NumVGPRsForWavesPerEU: 12
; Occupancy: 16
; WaveLimiterHint : 1
; COMPUTE_PGM_RSRC2:SCRATCH_EN: 0
; COMPUTE_PGM_RSRC2:USER_SGPR: 14
; COMPUTE_PGM_RSRC2:TRAP_HANDLER: 0
; COMPUTE_PGM_RSRC2:TGID_X_EN: 1
; COMPUTE_PGM_RSRC2:TGID_Y_EN: 0
; COMPUTE_PGM_RSRC2:TGID_Z_EN: 1
; COMPUTE_PGM_RSRC2:TIDIG_COMP_CNT: 0
	.section	.text._ZL18rocblas_rot_kernelIiLi512E19rocblas_complex_numIfEPKPS1_S4_PKS1_S6_EviT2_lllT3_lllT4_lT5_li,"axG",@progbits,_ZL18rocblas_rot_kernelIiLi512E19rocblas_complex_numIfEPKPS1_S4_PKS1_S6_EviT2_lllT3_lllT4_lT5_li,comdat
	.globl	_ZL18rocblas_rot_kernelIiLi512E19rocblas_complex_numIfEPKPS1_S4_PKS1_S6_EviT2_lllT3_lllT4_lT5_li ; -- Begin function _ZL18rocblas_rot_kernelIiLi512E19rocblas_complex_numIfEPKPS1_S4_PKS1_S6_EviT2_lllT3_lllT4_lT5_li
	.p2align	8
	.type	_ZL18rocblas_rot_kernelIiLi512E19rocblas_complex_numIfEPKPS1_S4_PKS1_S6_EviT2_lllT3_lllT4_lT5_li,@function
_ZL18rocblas_rot_kernelIiLi512E19rocblas_complex_numIfEPKPS1_S4_PKS1_S6_EviT2_lllT3_lllT4_lT5_li: ; @_ZL18rocblas_rot_kernelIiLi512E19rocblas_complex_numIfEPKPS1_S4_PKS1_S6_EviT2_lllT3_lllT4_lT5_li
; %bb.0:
	s_clause 0x1
	s_load_b32 s3, s[0:1], 0x7c
	s_load_b32 s4, s[0:1], 0x0
	s_waitcnt lgkmcnt(0)
	s_and_b32 s3, s3, 0xffff
	s_ashr_i32 s5, s4, 31
	v_mad_u64_u32 v[1:2], null, s14, s3, v[0:1]
	v_mov_b32_e32 v2, 0
	s_mov_b32 s3, exec_lo
	s_delay_alu instid0(VALU_DEP_1)
	v_cmpx_gt_i64_e64 s[4:5], v[1:2]
	s_cbranch_execz .LBB32_2
; %bb.1:
	s_mov_b32 s2, s15
	s_clause 0x2
	s_load_b128 s[4:7], s[0:1], 0x28
	s_load_b64 s[12:13], s[0:1], 0x38
	s_load_b64 s[14:15], s[0:1], 0x18
	s_mov_b32 s3, 0
	s_delay_alu instid0(SALU_CYCLE_1)
	s_lshl_b64 s[16:17], s[2:3], 3
	s_waitcnt lgkmcnt(0)
	s_add_u32 s4, s4, s16
	s_addc_u32 s5, s5, s17
	s_load_b64 s[4:5], s[4:5], 0x0
	s_load_b128 s[8:11], s[0:1], 0x8
	v_mad_u64_u32 v[2:3], null, v1, s12, 0
	v_mad_u64_u32 v[4:5], null, v1, s14, 0
	s_lshl_b64 s[6:7], s[6:7], 3
	s_delay_alu instid0(VALU_DEP_1) | instskip(NEXT) | instid1(VALU_DEP_1)
	v_dual_mov_b32 v0, v3 :: v_dual_mov_b32 v3, v5
	v_mad_u64_u32 v[5:6], null, v1, s13, v[0:1]
	s_delay_alu instid0(VALU_DEP_2)
	v_mad_u64_u32 v[6:7], null, v1, s15, v[3:4]
	s_waitcnt lgkmcnt(0)
	s_add_u32 s3, s4, s6
	s_addc_u32 s12, s5, s7
	s_add_u32 s4, s8, s16
	s_addc_u32 s5, s9, s17
	s_delay_alu instid0(VALU_DEP_2) | instskip(SKIP_3) | instid1(VALU_DEP_2)
	v_mov_b32_e32 v3, v5
	s_load_b64 s[4:5], s[4:5], 0x0
	v_mov_b32_e32 v5, v6
	s_lshl_b64 s[6:7], s[10:11], 3
	v_lshlrev_b64 v[0:1], 3, v[2:3]
	s_delay_alu instid0(VALU_DEP_2) | instskip(NEXT) | instid1(VALU_DEP_2)
	v_lshlrev_b64 v[2:3], 3, v[4:5]
	v_add_co_u32 v0, vcc_lo, s3, v0
	s_delay_alu instid0(VALU_DEP_3)
	v_add_co_ci_u32_e32 v1, vcc_lo, s12, v1, vcc_lo
	s_waitcnt lgkmcnt(0)
	s_add_u32 s3, s4, s6
	s_addc_u32 s4, s5, s7
	v_add_co_u32 v2, vcc_lo, s3, v2
	v_add_co_ci_u32_e32 v3, vcc_lo, s4, v3, vcc_lo
	s_load_b256 s[4:11], s[0:1], 0x48
	global_load_b64 v[4:5], v[0:1], off
	global_load_b64 v[6:7], v[2:3], off
	s_waitcnt lgkmcnt(0)
	s_mul_i32 s1, s2, s11
	s_mul_hi_u32 s3, s2, s10
	s_mul_i32 s0, s2, s10
	s_add_i32 s1, s3, s1
	s_mul_i32 s3, s2, s7
	s_lshl_b64 s[0:1], s[0:1], 3
	s_mul_hi_u32 s7, s2, s6
	s_add_u32 s0, s8, s0
	s_addc_u32 s1, s9, s1
	s_mul_i32 s2, s2, s6
	s_load_b64 s[0:1], s[0:1], 0x0
	s_add_i32 s3, s7, s3
	s_delay_alu instid0(SALU_CYCLE_1) | instskip(NEXT) | instid1(SALU_CYCLE_1)
	s_lshl_b64 s[2:3], s[2:3], 3
	s_add_u32 s2, s4, s2
	s_addc_u32 s3, s5, s3
	s_load_b32 s2, s[2:3], 0x0
	s_waitcnt vmcnt(1) lgkmcnt(0)
	v_mul_f32_e32 v8, s1, v5
	s_waitcnt vmcnt(0)
	v_dual_mul_f32 v10, s1, v7 :: v_dual_mul_f32 v11, s1, v6
	v_mul_f32_e32 v9, s0, v5
	s_delay_alu instid0(VALU_DEP_3) | instskip(NEXT) | instid1(VALU_DEP_3)
	v_fma_f32 v8, s0, v4, -v8
	v_fmac_f32_e32 v10, s0, v6
	s_delay_alu instid0(VALU_DEP_4) | instskip(NEXT) | instid1(VALU_DEP_3)
	v_fma_f32 v11, s0, v7, -v11
	v_dual_fmac_f32 v9, s1, v4 :: v_dual_fmac_f32 v8, s2, v6
	s_delay_alu instid0(VALU_DEP_3) | instskip(NEXT) | instid1(VALU_DEP_3)
	v_fma_f32 v4, s2, v4, -v10
	v_fma_f32 v5, s2, v5, -v11
	s_delay_alu instid0(VALU_DEP_3)
	v_fmac_f32_e32 v9, s2, v7
	global_store_b64 v[0:1], v[4:5], off
	global_store_b64 v[2:3], v[8:9], off
.LBB32_2:
	s_nop 0
	s_sendmsg sendmsg(MSG_DEALLOC_VGPRS)
	s_endpgm
	.section	.rodata,"a",@progbits
	.p2align	6, 0x0
	.amdhsa_kernel _ZL18rocblas_rot_kernelIiLi512E19rocblas_complex_numIfEPKPS1_S4_PKS1_S6_EviT2_lllT3_lllT4_lT5_li
		.amdhsa_group_segment_fixed_size 0
		.amdhsa_private_segment_fixed_size 0
		.amdhsa_kernarg_size 368
		.amdhsa_user_sgpr_count 14
		.amdhsa_user_sgpr_dispatch_ptr 0
		.amdhsa_user_sgpr_queue_ptr 0
		.amdhsa_user_sgpr_kernarg_segment_ptr 1
		.amdhsa_user_sgpr_dispatch_id 0
		.amdhsa_user_sgpr_private_segment_size 0
		.amdhsa_wavefront_size32 1
		.amdhsa_uses_dynamic_stack 0
		.amdhsa_enable_private_segment 0
		.amdhsa_system_sgpr_workgroup_id_x 1
		.amdhsa_system_sgpr_workgroup_id_y 0
		.amdhsa_system_sgpr_workgroup_id_z 1
		.amdhsa_system_sgpr_workgroup_info 0
		.amdhsa_system_vgpr_workitem_id 0
		.amdhsa_next_free_vgpr 12
		.amdhsa_next_free_sgpr 18
		.amdhsa_reserve_vcc 1
		.amdhsa_float_round_mode_32 0
		.amdhsa_float_round_mode_16_64 0
		.amdhsa_float_denorm_mode_32 3
		.amdhsa_float_denorm_mode_16_64 3
		.amdhsa_dx10_clamp 1
		.amdhsa_ieee_mode 1
		.amdhsa_fp16_overflow 0
		.amdhsa_workgroup_processor_mode 1
		.amdhsa_memory_ordered 1
		.amdhsa_forward_progress 0
		.amdhsa_shared_vgpr_count 0
		.amdhsa_exception_fp_ieee_invalid_op 0
		.amdhsa_exception_fp_denorm_src 0
		.amdhsa_exception_fp_ieee_div_zero 0
		.amdhsa_exception_fp_ieee_overflow 0
		.amdhsa_exception_fp_ieee_underflow 0
		.amdhsa_exception_fp_ieee_inexact 0
		.amdhsa_exception_int_div_zero 0
	.end_amdhsa_kernel
	.section	.text._ZL18rocblas_rot_kernelIiLi512E19rocblas_complex_numIfEPKPS1_S4_PKS1_S6_EviT2_lllT3_lllT4_lT5_li,"axG",@progbits,_ZL18rocblas_rot_kernelIiLi512E19rocblas_complex_numIfEPKPS1_S4_PKS1_S6_EviT2_lllT3_lllT4_lT5_li,comdat
.Lfunc_end32:
	.size	_ZL18rocblas_rot_kernelIiLi512E19rocblas_complex_numIfEPKPS1_S4_PKS1_S6_EviT2_lllT3_lllT4_lT5_li, .Lfunc_end32-_ZL18rocblas_rot_kernelIiLi512E19rocblas_complex_numIfEPKPS1_S4_PKS1_S6_EviT2_lllT3_lllT4_lT5_li
                                        ; -- End function
	.section	.AMDGPU.csdata,"",@progbits
; Kernel info:
; codeLenInByte = 516
; NumSgprs: 20
; NumVgprs: 12
; ScratchSize: 0
; MemoryBound: 0
; FloatMode: 240
; IeeeMode: 1
; LDSByteSize: 0 bytes/workgroup (compile time only)
; SGPRBlocks: 2
; VGPRBlocks: 1
; NumSGPRsForWavesPerEU: 20
; NumVGPRsForWavesPerEU: 12
; Occupancy: 16
; WaveLimiterHint : 1
; COMPUTE_PGM_RSRC2:SCRATCH_EN: 0
; COMPUTE_PGM_RSRC2:USER_SGPR: 14
; COMPUTE_PGM_RSRC2:TRAP_HANDLER: 0
; COMPUTE_PGM_RSRC2:TGID_X_EN: 1
; COMPUTE_PGM_RSRC2:TGID_Y_EN: 0
; COMPUTE_PGM_RSRC2:TGID_Z_EN: 1
; COMPUTE_PGM_RSRC2:TIDIG_COMP_CNT: 0
	.section	.text._ZL18rocblas_rot_kernelIiLi512E19rocblas_complex_numIfEPKPS1_S4_S1_S1_EviT2_lllT3_lllT4_lT5_li,"axG",@progbits,_ZL18rocblas_rot_kernelIiLi512E19rocblas_complex_numIfEPKPS1_S4_S1_S1_EviT2_lllT3_lllT4_lT5_li,comdat
	.globl	_ZL18rocblas_rot_kernelIiLi512E19rocblas_complex_numIfEPKPS1_S4_S1_S1_EviT2_lllT3_lllT4_lT5_li ; -- Begin function _ZL18rocblas_rot_kernelIiLi512E19rocblas_complex_numIfEPKPS1_S4_S1_S1_EviT2_lllT3_lllT4_lT5_li
	.p2align	8
	.type	_ZL18rocblas_rot_kernelIiLi512E19rocblas_complex_numIfEPKPS1_S4_S1_S1_EviT2_lllT3_lllT4_lT5_li,@function
_ZL18rocblas_rot_kernelIiLi512E19rocblas_complex_numIfEPKPS1_S4_S1_S1_EviT2_lllT3_lllT4_lT5_li: ; @_ZL18rocblas_rot_kernelIiLi512E19rocblas_complex_numIfEPKPS1_S4_S1_S1_EviT2_lllT3_lllT4_lT5_li
; %bb.0:
	s_clause 0x1
	s_load_b32 s3, s[0:1], 0x7c
	s_load_b32 s4, s[0:1], 0x0
	s_waitcnt lgkmcnt(0)
	s_and_b32 s3, s3, 0xffff
	s_ashr_i32 s5, s4, 31
	v_mad_u64_u32 v[1:2], null, s14, s3, v[0:1]
	v_mov_b32_e32 v2, 0
	s_mov_b32 s3, exec_lo
	s_delay_alu instid0(VALU_DEP_1)
	v_cmpx_gt_i64_e64 s[4:5], v[1:2]
	s_cbranch_execz .LBB33_2
; %bb.1:
	s_mov_b32 s2, s15
	s_clause 0x2
	s_load_b128 s[4:7], s[0:1], 0x28
	s_load_b64 s[12:13], s[0:1], 0x38
	s_load_b64 s[14:15], s[0:1], 0x18
	s_mov_b32 s3, 0
	s_delay_alu instid0(SALU_CYCLE_1)
	s_lshl_b64 s[2:3], s[2:3], 3
	s_waitcnt lgkmcnt(0)
	s_add_u32 s4, s4, s2
	s_addc_u32 s5, s5, s3
	s_load_b64 s[4:5], s[4:5], 0x0
	s_load_b128 s[8:11], s[0:1], 0x8
	v_mad_u64_u32 v[2:3], null, v1, s12, 0
	v_mad_u64_u32 v[4:5], null, v1, s14, 0
	s_lshl_b64 s[6:7], s[6:7], 3
	s_delay_alu instid0(VALU_DEP_1) | instskip(NEXT) | instid1(VALU_DEP_1)
	v_dual_mov_b32 v0, v3 :: v_dual_mov_b32 v3, v5
	v_mad_u64_u32 v[5:6], null, v1, s13, v[0:1]
	s_delay_alu instid0(VALU_DEP_2)
	v_mad_u64_u32 v[6:7], null, v1, s15, v[3:4]
	s_waitcnt lgkmcnt(0)
	s_add_u32 s6, s4, s6
	s_addc_u32 s7, s5, s7
	s_add_u32 s2, s8, s2
	s_addc_u32 s3, s9, s3
	s_delay_alu instid0(VALU_DEP_2) | instskip(SKIP_3) | instid1(VALU_DEP_2)
	v_mov_b32_e32 v3, v5
	s_load_b64 s[2:3], s[2:3], 0x0
	v_mov_b32_e32 v5, v6
	s_lshl_b64 s[4:5], s[10:11], 3
	v_lshlrev_b64 v[0:1], 3, v[2:3]
	s_delay_alu instid0(VALU_DEP_2) | instskip(NEXT) | instid1(VALU_DEP_2)
	v_lshlrev_b64 v[2:3], 3, v[4:5]
	v_add_co_u32 v0, vcc_lo, s6, v0
	s_delay_alu instid0(VALU_DEP_3)
	v_add_co_ci_u32_e32 v1, vcc_lo, s7, v1, vcc_lo
	s_waitcnt lgkmcnt(0)
	s_add_u32 s2, s2, s4
	s_addc_u32 s3, s3, s5
	v_add_co_u32 v2, vcc_lo, s2, v2
	v_add_co_ci_u32_e32 v3, vcc_lo, s3, v3, vcc_lo
	global_load_b64 v[4:5], v[0:1], off
	global_load_b64 v[6:7], v[2:3], off
	s_clause 0x1
	s_load_b64 s[2:3], s[0:1], 0x58
	s_load_b32 s0, s[0:1], 0x48
	s_waitcnt vmcnt(1) lgkmcnt(0)
	v_mul_f32_e32 v8, s3, v5
	s_waitcnt vmcnt(0)
	v_dual_mul_f32 v10, s3, v7 :: v_dual_mul_f32 v11, s3, v6
	v_mul_f32_e32 v9, s2, v5
	s_delay_alu instid0(VALU_DEP_3) | instskip(NEXT) | instid1(VALU_DEP_3)
	v_fma_f32 v8, s2, v4, -v8
	v_fmac_f32_e32 v10, s2, v6
	s_delay_alu instid0(VALU_DEP_4) | instskip(NEXT) | instid1(VALU_DEP_3)
	v_fma_f32 v11, s2, v7, -v11
	v_dual_fmac_f32 v9, s3, v4 :: v_dual_fmac_f32 v8, s0, v6
	s_delay_alu instid0(VALU_DEP_3) | instskip(NEXT) | instid1(VALU_DEP_3)
	v_fma_f32 v4, s0, v4, -v10
	v_fma_f32 v5, s0, v5, -v11
	s_delay_alu instid0(VALU_DEP_3)
	v_fmac_f32_e32 v9, s0, v7
	global_store_b64 v[0:1], v[4:5], off
	global_store_b64 v[2:3], v[8:9], off
.LBB33_2:
	s_nop 0
	s_sendmsg sendmsg(MSG_DEALLOC_VGPRS)
	s_endpgm
	.section	.rodata,"a",@progbits
	.p2align	6, 0x0
	.amdhsa_kernel _ZL18rocblas_rot_kernelIiLi512E19rocblas_complex_numIfEPKPS1_S4_S1_S1_EviT2_lllT3_lllT4_lT5_li
		.amdhsa_group_segment_fixed_size 0
		.amdhsa_private_segment_fixed_size 0
		.amdhsa_kernarg_size 368
		.amdhsa_user_sgpr_count 14
		.amdhsa_user_sgpr_dispatch_ptr 0
		.amdhsa_user_sgpr_queue_ptr 0
		.amdhsa_user_sgpr_kernarg_segment_ptr 1
		.amdhsa_user_sgpr_dispatch_id 0
		.amdhsa_user_sgpr_private_segment_size 0
		.amdhsa_wavefront_size32 1
		.amdhsa_uses_dynamic_stack 0
		.amdhsa_enable_private_segment 0
		.amdhsa_system_sgpr_workgroup_id_x 1
		.amdhsa_system_sgpr_workgroup_id_y 0
		.amdhsa_system_sgpr_workgroup_id_z 1
		.amdhsa_system_sgpr_workgroup_info 0
		.amdhsa_system_vgpr_workitem_id 0
		.amdhsa_next_free_vgpr 12
		.amdhsa_next_free_sgpr 16
		.amdhsa_reserve_vcc 1
		.amdhsa_float_round_mode_32 0
		.amdhsa_float_round_mode_16_64 0
		.amdhsa_float_denorm_mode_32 3
		.amdhsa_float_denorm_mode_16_64 3
		.amdhsa_dx10_clamp 1
		.amdhsa_ieee_mode 1
		.amdhsa_fp16_overflow 0
		.amdhsa_workgroup_processor_mode 1
		.amdhsa_memory_ordered 1
		.amdhsa_forward_progress 0
		.amdhsa_shared_vgpr_count 0
		.amdhsa_exception_fp_ieee_invalid_op 0
		.amdhsa_exception_fp_denorm_src 0
		.amdhsa_exception_fp_ieee_div_zero 0
		.amdhsa_exception_fp_ieee_overflow 0
		.amdhsa_exception_fp_ieee_underflow 0
		.amdhsa_exception_fp_ieee_inexact 0
		.amdhsa_exception_int_div_zero 0
	.end_amdhsa_kernel
	.section	.text._ZL18rocblas_rot_kernelIiLi512E19rocblas_complex_numIfEPKPS1_S4_S1_S1_EviT2_lllT3_lllT4_lT5_li,"axG",@progbits,_ZL18rocblas_rot_kernelIiLi512E19rocblas_complex_numIfEPKPS1_S4_S1_S1_EviT2_lllT3_lllT4_lT5_li,comdat
.Lfunc_end33:
	.size	_ZL18rocblas_rot_kernelIiLi512E19rocblas_complex_numIfEPKPS1_S4_S1_S1_EviT2_lllT3_lllT4_lT5_li, .Lfunc_end33-_ZL18rocblas_rot_kernelIiLi512E19rocblas_complex_numIfEPKPS1_S4_S1_S1_EviT2_lllT3_lllT4_lT5_li
                                        ; -- End function
	.section	.AMDGPU.csdata,"",@progbits
; Kernel info:
; codeLenInByte = 448
; NumSgprs: 18
; NumVgprs: 12
; ScratchSize: 0
; MemoryBound: 0
; FloatMode: 240
; IeeeMode: 1
; LDSByteSize: 0 bytes/workgroup (compile time only)
; SGPRBlocks: 2
; VGPRBlocks: 1
; NumSGPRsForWavesPerEU: 18
; NumVGPRsForWavesPerEU: 12
; Occupancy: 16
; WaveLimiterHint : 1
; COMPUTE_PGM_RSRC2:SCRATCH_EN: 0
; COMPUTE_PGM_RSRC2:USER_SGPR: 14
; COMPUTE_PGM_RSRC2:TRAP_HANDLER: 0
; COMPUTE_PGM_RSRC2:TGID_X_EN: 1
; COMPUTE_PGM_RSRC2:TGID_Y_EN: 0
; COMPUTE_PGM_RSRC2:TGID_Z_EN: 1
; COMPUTE_PGM_RSRC2:TIDIG_COMP_CNT: 0
	.section	.text._ZL18rocblas_rot_kernelIiLi512E19rocblas_complex_numIdEPKPS1_S4_PKS1_S6_EviT2_lllT3_lllT4_lT5_li,"axG",@progbits,_ZL18rocblas_rot_kernelIiLi512E19rocblas_complex_numIdEPKPS1_S4_PKS1_S6_EviT2_lllT3_lllT4_lT5_li,comdat
	.globl	_ZL18rocblas_rot_kernelIiLi512E19rocblas_complex_numIdEPKPS1_S4_PKS1_S6_EviT2_lllT3_lllT4_lT5_li ; -- Begin function _ZL18rocblas_rot_kernelIiLi512E19rocblas_complex_numIdEPKPS1_S4_PKS1_S6_EviT2_lllT3_lllT4_lT5_li
	.p2align	8
	.type	_ZL18rocblas_rot_kernelIiLi512E19rocblas_complex_numIdEPKPS1_S4_PKS1_S6_EviT2_lllT3_lllT4_lT5_li,@function
_ZL18rocblas_rot_kernelIiLi512E19rocblas_complex_numIdEPKPS1_S4_PKS1_S6_EviT2_lllT3_lllT4_lT5_li: ; @_ZL18rocblas_rot_kernelIiLi512E19rocblas_complex_numIdEPKPS1_S4_PKS1_S6_EviT2_lllT3_lllT4_lT5_li
; %bb.0:
	s_clause 0x1
	s_load_b32 s3, s[0:1], 0x7c
	s_load_b32 s4, s[0:1], 0x0
	s_waitcnt lgkmcnt(0)
	s_and_b32 s3, s3, 0xffff
	s_ashr_i32 s5, s4, 31
	v_mad_u64_u32 v[1:2], null, s14, s3, v[0:1]
	v_mov_b32_e32 v2, 0
	s_mov_b32 s3, exec_lo
	s_delay_alu instid0(VALU_DEP_1)
	v_cmpx_gt_i64_e64 s[4:5], v[1:2]
	s_cbranch_execz .LBB34_2
; %bb.1:
	s_mov_b32 s2, s15
	s_clause 0x2
	s_load_b128 s[8:11], s[0:1], 0x28
	s_load_b64 s[12:13], s[0:1], 0x38
	s_load_b64 s[14:15], s[0:1], 0x18
	s_mov_b32 s3, 0
	s_delay_alu instid0(SALU_CYCLE_1)
	s_lshl_b64 s[16:17], s[2:3], 3
	s_waitcnt lgkmcnt(0)
	s_add_u32 s4, s8, s16
	s_addc_u32 s5, s9, s17
	s_load_b64 s[8:9], s[4:5], 0x0
	s_load_b128 s[4:7], s[0:1], 0x8
	v_mad_u64_u32 v[2:3], null, v1, s12, 0
	v_mad_u64_u32 v[4:5], null, v1, s14, 0
	s_lshl_b64 s[10:11], s[10:11], 4
	s_delay_alu instid0(VALU_DEP_1) | instskip(NEXT) | instid1(VALU_DEP_1)
	v_dual_mov_b32 v0, v3 :: v_dual_mov_b32 v3, v5
	v_mad_u64_u32 v[5:6], null, v1, s13, v[0:1]
	s_delay_alu instid0(VALU_DEP_2)
	v_mad_u64_u32 v[6:7], null, v1, s15, v[3:4]
	s_waitcnt lgkmcnt(0)
	s_add_u32 s3, s8, s10
	s_addc_u32 s8, s9, s11
	s_add_u32 s4, s4, s16
	s_addc_u32 s5, s5, s17
	s_delay_alu instid0(VALU_DEP_2) | instskip(SKIP_3) | instid1(VALU_DEP_2)
	v_mov_b32_e32 v3, v5
	s_load_b64 s[4:5], s[4:5], 0x0
	v_mov_b32_e32 v5, v6
	s_lshl_b64 s[6:7], s[6:7], 4
	v_lshlrev_b64 v[0:1], 4, v[2:3]
	s_delay_alu instid0(VALU_DEP_2) | instskip(NEXT) | instid1(VALU_DEP_2)
	v_lshlrev_b64 v[2:3], 4, v[4:5]
	v_add_co_u32 v8, vcc_lo, s3, v0
	s_delay_alu instid0(VALU_DEP_3)
	v_add_co_ci_u32_e32 v9, vcc_lo, s8, v1, vcc_lo
	s_waitcnt lgkmcnt(0)
	s_add_u32 s3, s4, s6
	s_addc_u32 s4, s5, s7
	v_add_co_u32 v10, vcc_lo, s3, v2
	v_add_co_ci_u32_e32 v11, vcc_lo, s4, v3, vcc_lo
	s_load_b256 s[4:11], s[0:1], 0x48
	global_load_b128 v[0:3], v[8:9], off
	global_load_b128 v[4:7], v[10:11], off
	s_waitcnt lgkmcnt(0)
	s_mul_i32 s1, s2, s11
	s_mul_hi_u32 s3, s2, s10
	s_mul_i32 s0, s2, s10
	s_add_i32 s1, s3, s1
	s_mul_hi_u32 s3, s2, s6
	s_lshl_b64 s[0:1], s[0:1], 4
	s_delay_alu instid0(SALU_CYCLE_1)
	s_add_u32 s0, s8, s0
	s_addc_u32 s1, s9, s1
	s_load_b128 s[8:11], s[0:1], 0x0
	s_mul_i32 s1, s2, s7
	s_mul_i32 s0, s2, s6
	s_add_i32 s1, s3, s1
	s_delay_alu instid0(SALU_CYCLE_1) | instskip(NEXT) | instid1(SALU_CYCLE_1)
	s_lshl_b64 s[0:1], s[0:1], 4
	s_add_u32 s0, s4, s0
	s_addc_u32 s1, s5, s1
	s_load_b64 s[0:1], s[0:1], 0x0
	s_waitcnt vmcnt(1) lgkmcnt(0)
	v_mul_f64 v[12:13], s[10:11], v[2:3]
	s_waitcnt vmcnt(0)
	v_mul_f64 v[14:15], s[10:11], v[6:7]
	v_mul_f64 v[16:17], s[10:11], v[4:5]
	;; [unrolled: 1-line block ×3, first 2 shown]
	s_delay_alu instid0(VALU_DEP_4) | instskip(NEXT) | instid1(VALU_DEP_4)
	v_fma_f64 v[12:13], s[8:9], v[0:1], -v[12:13]
	v_fma_f64 v[14:15], s[8:9], v[4:5], v[14:15]
	s_delay_alu instid0(VALU_DEP_4) | instskip(NEXT) | instid1(VALU_DEP_4)
	v_fma_f64 v[16:17], s[8:9], v[6:7], -v[16:17]
	v_fma_f64 v[18:19], s[10:11], v[0:1], v[18:19]
	s_delay_alu instid0(VALU_DEP_4) | instskip(NEXT) | instid1(VALU_DEP_4)
	v_fma_f64 v[4:5], s[0:1], v[4:5], v[12:13]
	v_fma_f64 v[0:1], s[0:1], v[0:1], -v[14:15]
	s_delay_alu instid0(VALU_DEP_4) | instskip(NEXT) | instid1(VALU_DEP_4)
	v_fma_f64 v[2:3], s[0:1], v[2:3], -v[16:17]
	v_fma_f64 v[6:7], s[0:1], v[6:7], v[18:19]
	global_store_b128 v[8:9], v[0:3], off
	global_store_b128 v[10:11], v[4:7], off
.LBB34_2:
	s_nop 0
	s_sendmsg sendmsg(MSG_DEALLOC_VGPRS)
	s_endpgm
	.section	.rodata,"a",@progbits
	.p2align	6, 0x0
	.amdhsa_kernel _ZL18rocblas_rot_kernelIiLi512E19rocblas_complex_numIdEPKPS1_S4_PKS1_S6_EviT2_lllT3_lllT4_lT5_li
		.amdhsa_group_segment_fixed_size 0
		.amdhsa_private_segment_fixed_size 0
		.amdhsa_kernarg_size 368
		.amdhsa_user_sgpr_count 14
		.amdhsa_user_sgpr_dispatch_ptr 0
		.amdhsa_user_sgpr_queue_ptr 0
		.amdhsa_user_sgpr_kernarg_segment_ptr 1
		.amdhsa_user_sgpr_dispatch_id 0
		.amdhsa_user_sgpr_private_segment_size 0
		.amdhsa_wavefront_size32 1
		.amdhsa_uses_dynamic_stack 0
		.amdhsa_enable_private_segment 0
		.amdhsa_system_sgpr_workgroup_id_x 1
		.amdhsa_system_sgpr_workgroup_id_y 0
		.amdhsa_system_sgpr_workgroup_id_z 1
		.amdhsa_system_sgpr_workgroup_info 0
		.amdhsa_system_vgpr_workitem_id 0
		.amdhsa_next_free_vgpr 20
		.amdhsa_next_free_sgpr 18
		.amdhsa_reserve_vcc 1
		.amdhsa_float_round_mode_32 0
		.amdhsa_float_round_mode_16_64 0
		.amdhsa_float_denorm_mode_32 3
		.amdhsa_float_denorm_mode_16_64 3
		.amdhsa_dx10_clamp 1
		.amdhsa_ieee_mode 1
		.amdhsa_fp16_overflow 0
		.amdhsa_workgroup_processor_mode 1
		.amdhsa_memory_ordered 1
		.amdhsa_forward_progress 0
		.amdhsa_shared_vgpr_count 0
		.amdhsa_exception_fp_ieee_invalid_op 0
		.amdhsa_exception_fp_denorm_src 0
		.amdhsa_exception_fp_ieee_div_zero 0
		.amdhsa_exception_fp_ieee_overflow 0
		.amdhsa_exception_fp_ieee_underflow 0
		.amdhsa_exception_fp_ieee_inexact 0
		.amdhsa_exception_int_div_zero 0
	.end_amdhsa_kernel
	.section	.text._ZL18rocblas_rot_kernelIiLi512E19rocblas_complex_numIdEPKPS1_S4_PKS1_S6_EviT2_lllT3_lllT4_lT5_li,"axG",@progbits,_ZL18rocblas_rot_kernelIiLi512E19rocblas_complex_numIdEPKPS1_S4_PKS1_S6_EviT2_lllT3_lllT4_lT5_li,comdat
.Lfunc_end34:
	.size	_ZL18rocblas_rot_kernelIiLi512E19rocblas_complex_numIdEPKPS1_S4_PKS1_S6_EviT2_lllT3_lllT4_lT5_li, .Lfunc_end34-_ZL18rocblas_rot_kernelIiLi512E19rocblas_complex_numIdEPKPS1_S4_PKS1_S6_EviT2_lllT3_lllT4_lT5_li
                                        ; -- End function
	.section	.AMDGPU.csdata,"",@progbits
; Kernel info:
; codeLenInByte = 552
; NumSgprs: 20
; NumVgprs: 20
; ScratchSize: 0
; MemoryBound: 0
; FloatMode: 240
; IeeeMode: 1
; LDSByteSize: 0 bytes/workgroup (compile time only)
; SGPRBlocks: 2
; VGPRBlocks: 2
; NumSGPRsForWavesPerEU: 20
; NumVGPRsForWavesPerEU: 20
; Occupancy: 16
; WaveLimiterHint : 1
; COMPUTE_PGM_RSRC2:SCRATCH_EN: 0
; COMPUTE_PGM_RSRC2:USER_SGPR: 14
; COMPUTE_PGM_RSRC2:TRAP_HANDLER: 0
; COMPUTE_PGM_RSRC2:TGID_X_EN: 1
; COMPUTE_PGM_RSRC2:TGID_Y_EN: 0
; COMPUTE_PGM_RSRC2:TGID_Z_EN: 1
; COMPUTE_PGM_RSRC2:TIDIG_COMP_CNT: 0
	.section	.text._ZL18rocblas_rot_kernelIiLi512E19rocblas_complex_numIdEPKPS1_S4_S1_S1_EviT2_lllT3_lllT4_lT5_li,"axG",@progbits,_ZL18rocblas_rot_kernelIiLi512E19rocblas_complex_numIdEPKPS1_S4_S1_S1_EviT2_lllT3_lllT4_lT5_li,comdat
	.globl	_ZL18rocblas_rot_kernelIiLi512E19rocblas_complex_numIdEPKPS1_S4_S1_S1_EviT2_lllT3_lllT4_lT5_li ; -- Begin function _ZL18rocblas_rot_kernelIiLi512E19rocblas_complex_numIdEPKPS1_S4_S1_S1_EviT2_lllT3_lllT4_lT5_li
	.p2align	8
	.type	_ZL18rocblas_rot_kernelIiLi512E19rocblas_complex_numIdEPKPS1_S4_S1_S1_EviT2_lllT3_lllT4_lT5_li,@function
_ZL18rocblas_rot_kernelIiLi512E19rocblas_complex_numIdEPKPS1_S4_S1_S1_EviT2_lllT3_lllT4_lT5_li: ; @_ZL18rocblas_rot_kernelIiLi512E19rocblas_complex_numIdEPKPS1_S4_S1_S1_EviT2_lllT3_lllT4_lT5_li
; %bb.0:
	s_clause 0x1
	s_load_b32 s3, s[0:1], 0x8c
	s_load_b32 s4, s[0:1], 0x0
	s_waitcnt lgkmcnt(0)
	s_and_b32 s3, s3, 0xffff
	s_ashr_i32 s5, s4, 31
	v_mad_u64_u32 v[1:2], null, s14, s3, v[0:1]
	v_mov_b32_e32 v2, 0
	s_mov_b32 s3, exec_lo
	s_delay_alu instid0(VALU_DEP_1)
	v_cmpx_gt_i64_e64 s[4:5], v[1:2]
	s_cbranch_execz .LBB35_2
; %bb.1:
	s_mov_b32 s2, s15
	s_clause 0x2
	s_load_b128 s[8:11], s[0:1], 0x28
	s_load_b64 s[12:13], s[0:1], 0x38
	s_load_b64 s[14:15], s[0:1], 0x18
	s_mov_b32 s3, 0
	s_delay_alu instid0(SALU_CYCLE_1)
	s_lshl_b64 s[2:3], s[2:3], 3
	s_waitcnt lgkmcnt(0)
	s_add_u32 s4, s8, s2
	s_addc_u32 s5, s9, s3
	s_load_b64 s[8:9], s[4:5], 0x0
	s_load_b128 s[4:7], s[0:1], 0x8
	v_mad_u64_u32 v[2:3], null, v1, s12, 0
	v_mad_u64_u32 v[4:5], null, v1, s14, 0
	s_lshl_b64 s[10:11], s[10:11], 4
	s_delay_alu instid0(VALU_DEP_1) | instskip(NEXT) | instid1(VALU_DEP_1)
	v_dual_mov_b32 v0, v3 :: v_dual_mov_b32 v3, v5
	v_mad_u64_u32 v[5:6], null, v1, s13, v[0:1]
	s_delay_alu instid0(VALU_DEP_2)
	v_mad_u64_u32 v[6:7], null, v1, s15, v[3:4]
	s_waitcnt lgkmcnt(0)
	s_add_u32 s8, s8, s10
	s_addc_u32 s9, s9, s11
	s_add_u32 s2, s4, s2
	s_addc_u32 s3, s5, s3
	s_delay_alu instid0(VALU_DEP_2) | instskip(SKIP_3) | instid1(VALU_DEP_2)
	v_mov_b32_e32 v3, v5
	s_load_b64 s[2:3], s[2:3], 0x0
	v_mov_b32_e32 v5, v6
	s_lshl_b64 s[4:5], s[6:7], 4
	v_lshlrev_b64 v[0:1], 4, v[2:3]
	s_delay_alu instid0(VALU_DEP_2) | instskip(NEXT) | instid1(VALU_DEP_2)
	v_lshlrev_b64 v[2:3], 4, v[4:5]
	v_add_co_u32 v8, vcc_lo, s8, v0
	s_delay_alu instid0(VALU_DEP_3)
	v_add_co_ci_u32_e32 v9, vcc_lo, s9, v1, vcc_lo
	s_waitcnt lgkmcnt(0)
	s_add_u32 s2, s2, s4
	s_addc_u32 s3, s3, s5
	v_add_co_u32 v10, vcc_lo, s2, v2
	v_add_co_ci_u32_e32 v11, vcc_lo, s3, v3, vcc_lo
	global_load_b128 v[0:3], v[8:9], off
	global_load_b128 v[4:7], v[10:11], off
	s_clause 0x1
	s_load_b128 s[4:7], s[0:1], 0x60
	s_load_b64 s[0:1], s[0:1], 0x48
	s_waitcnt vmcnt(1) lgkmcnt(0)
	v_mul_f64 v[12:13], s[6:7], v[2:3]
	s_waitcnt vmcnt(0)
	v_mul_f64 v[14:15], s[6:7], v[6:7]
	v_mul_f64 v[16:17], s[6:7], v[4:5]
	;; [unrolled: 1-line block ×3, first 2 shown]
	s_delay_alu instid0(VALU_DEP_4) | instskip(NEXT) | instid1(VALU_DEP_4)
	v_fma_f64 v[12:13], s[4:5], v[0:1], -v[12:13]
	v_fma_f64 v[14:15], s[4:5], v[4:5], v[14:15]
	s_delay_alu instid0(VALU_DEP_4) | instskip(NEXT) | instid1(VALU_DEP_4)
	v_fma_f64 v[16:17], s[4:5], v[6:7], -v[16:17]
	v_fma_f64 v[18:19], s[6:7], v[0:1], v[18:19]
	s_delay_alu instid0(VALU_DEP_4) | instskip(NEXT) | instid1(VALU_DEP_4)
	v_fma_f64 v[4:5], s[0:1], v[4:5], v[12:13]
	v_fma_f64 v[0:1], s[0:1], v[0:1], -v[14:15]
	s_delay_alu instid0(VALU_DEP_4) | instskip(NEXT) | instid1(VALU_DEP_4)
	v_fma_f64 v[2:3], s[0:1], v[2:3], -v[16:17]
	v_fma_f64 v[6:7], s[0:1], v[6:7], v[18:19]
	global_store_b128 v[8:9], v[0:3], off
	global_store_b128 v[10:11], v[4:7], off
.LBB35_2:
	s_nop 0
	s_sendmsg sendmsg(MSG_DEALLOC_VGPRS)
	s_endpgm
	.section	.rodata,"a",@progbits
	.p2align	6, 0x0
	.amdhsa_kernel _ZL18rocblas_rot_kernelIiLi512E19rocblas_complex_numIdEPKPS1_S4_S1_S1_EviT2_lllT3_lllT4_lT5_li
		.amdhsa_group_segment_fixed_size 0
		.amdhsa_private_segment_fixed_size 0
		.amdhsa_kernarg_size 384
		.amdhsa_user_sgpr_count 14
		.amdhsa_user_sgpr_dispatch_ptr 0
		.amdhsa_user_sgpr_queue_ptr 0
		.amdhsa_user_sgpr_kernarg_segment_ptr 1
		.amdhsa_user_sgpr_dispatch_id 0
		.amdhsa_user_sgpr_private_segment_size 0
		.amdhsa_wavefront_size32 1
		.amdhsa_uses_dynamic_stack 0
		.amdhsa_enable_private_segment 0
		.amdhsa_system_sgpr_workgroup_id_x 1
		.amdhsa_system_sgpr_workgroup_id_y 0
		.amdhsa_system_sgpr_workgroup_id_z 1
		.amdhsa_system_sgpr_workgroup_info 0
		.amdhsa_system_vgpr_workitem_id 0
		.amdhsa_next_free_vgpr 20
		.amdhsa_next_free_sgpr 16
		.amdhsa_reserve_vcc 1
		.amdhsa_float_round_mode_32 0
		.amdhsa_float_round_mode_16_64 0
		.amdhsa_float_denorm_mode_32 3
		.amdhsa_float_denorm_mode_16_64 3
		.amdhsa_dx10_clamp 1
		.amdhsa_ieee_mode 1
		.amdhsa_fp16_overflow 0
		.amdhsa_workgroup_processor_mode 1
		.amdhsa_memory_ordered 1
		.amdhsa_forward_progress 0
		.amdhsa_shared_vgpr_count 0
		.amdhsa_exception_fp_ieee_invalid_op 0
		.amdhsa_exception_fp_denorm_src 0
		.amdhsa_exception_fp_ieee_div_zero 0
		.amdhsa_exception_fp_ieee_overflow 0
		.amdhsa_exception_fp_ieee_underflow 0
		.amdhsa_exception_fp_ieee_inexact 0
		.amdhsa_exception_int_div_zero 0
	.end_amdhsa_kernel
	.section	.text._ZL18rocblas_rot_kernelIiLi512E19rocblas_complex_numIdEPKPS1_S4_S1_S1_EviT2_lllT3_lllT4_lT5_li,"axG",@progbits,_ZL18rocblas_rot_kernelIiLi512E19rocblas_complex_numIdEPKPS1_S4_S1_S1_EviT2_lllT3_lllT4_lT5_li,comdat
.Lfunc_end35:
	.size	_ZL18rocblas_rot_kernelIiLi512E19rocblas_complex_numIdEPKPS1_S4_S1_S1_EviT2_lllT3_lllT4_lT5_li, .Lfunc_end35-_ZL18rocblas_rot_kernelIiLi512E19rocblas_complex_numIdEPKPS1_S4_S1_S1_EviT2_lllT3_lllT4_lT5_li
                                        ; -- End function
	.section	.AMDGPU.csdata,"",@progbits
; Kernel info:
; codeLenInByte = 480
; NumSgprs: 18
; NumVgprs: 20
; ScratchSize: 0
; MemoryBound: 0
; FloatMode: 240
; IeeeMode: 1
; LDSByteSize: 0 bytes/workgroup (compile time only)
; SGPRBlocks: 2
; VGPRBlocks: 2
; NumSGPRsForWavesPerEU: 18
; NumVGPRsForWavesPerEU: 20
; Occupancy: 16
; WaveLimiterHint : 1
; COMPUTE_PGM_RSRC2:SCRATCH_EN: 0
; COMPUTE_PGM_RSRC2:USER_SGPR: 14
; COMPUTE_PGM_RSRC2:TRAP_HANDLER: 0
; COMPUTE_PGM_RSRC2:TGID_X_EN: 1
; COMPUTE_PGM_RSRC2:TGID_Y_EN: 0
; COMPUTE_PGM_RSRC2:TGID_Z_EN: 1
; COMPUTE_PGM_RSRC2:TIDIG_COMP_CNT: 0
	.section	.text._ZL18rocblas_rot_kernelIiLi512E19rocblas_complex_numIdEPKPS1_S4_PKdS6_EviT2_lllT3_lllT4_lT5_li,"axG",@progbits,_ZL18rocblas_rot_kernelIiLi512E19rocblas_complex_numIdEPKPS1_S4_PKdS6_EviT2_lllT3_lllT4_lT5_li,comdat
	.globl	_ZL18rocblas_rot_kernelIiLi512E19rocblas_complex_numIdEPKPS1_S4_PKdS6_EviT2_lllT3_lllT4_lT5_li ; -- Begin function _ZL18rocblas_rot_kernelIiLi512E19rocblas_complex_numIdEPKPS1_S4_PKdS6_EviT2_lllT3_lllT4_lT5_li
	.p2align	8
	.type	_ZL18rocblas_rot_kernelIiLi512E19rocblas_complex_numIdEPKPS1_S4_PKdS6_EviT2_lllT3_lllT4_lT5_li,@function
_ZL18rocblas_rot_kernelIiLi512E19rocblas_complex_numIdEPKPS1_S4_PKdS6_EviT2_lllT3_lllT4_lT5_li: ; @_ZL18rocblas_rot_kernelIiLi512E19rocblas_complex_numIdEPKPS1_S4_PKdS6_EviT2_lllT3_lllT4_lT5_li
; %bb.0:
	s_clause 0x1
	s_load_b32 s3, s[0:1], 0x7c
	s_load_b32 s4, s[0:1], 0x0
	s_waitcnt lgkmcnt(0)
	s_and_b32 s3, s3, 0xffff
	s_ashr_i32 s5, s4, 31
	v_mad_u64_u32 v[1:2], null, s14, s3, v[0:1]
	v_mov_b32_e32 v2, 0
	s_mov_b32 s3, exec_lo
	s_delay_alu instid0(VALU_DEP_1)
	v_cmpx_gt_i64_e64 s[4:5], v[1:2]
	s_cbranch_execz .LBB36_2
; %bb.1:
	s_mov_b32 s2, s15
	s_clause 0x2
	s_load_b128 s[8:11], s[0:1], 0x28
	s_load_b64 s[12:13], s[0:1], 0x38
	s_load_b64 s[14:15], s[0:1], 0x18
	s_mov_b32 s3, 0
	s_delay_alu instid0(SALU_CYCLE_1)
	s_lshl_b64 s[16:17], s[2:3], 3
	s_waitcnt lgkmcnt(0)
	s_add_u32 s4, s8, s16
	s_addc_u32 s5, s9, s17
	s_load_b64 s[8:9], s[4:5], 0x0
	s_load_b128 s[4:7], s[0:1], 0x8
	v_mad_u64_u32 v[2:3], null, v1, s12, 0
	v_mad_u64_u32 v[4:5], null, v1, s14, 0
	s_lshl_b64 s[10:11], s[10:11], 4
	s_delay_alu instid0(VALU_DEP_1) | instskip(NEXT) | instid1(VALU_DEP_1)
	v_dual_mov_b32 v0, v3 :: v_dual_mov_b32 v3, v5
	v_mad_u64_u32 v[5:6], null, v1, s13, v[0:1]
	s_delay_alu instid0(VALU_DEP_2)
	v_mad_u64_u32 v[6:7], null, v1, s15, v[3:4]
	s_waitcnt lgkmcnt(0)
	s_add_u32 s3, s8, s10
	s_addc_u32 s8, s9, s11
	s_add_u32 s4, s4, s16
	s_addc_u32 s5, s5, s17
	s_delay_alu instid0(VALU_DEP_2) | instskip(SKIP_3) | instid1(VALU_DEP_2)
	v_mov_b32_e32 v3, v5
	s_load_b64 s[4:5], s[4:5], 0x0
	v_mov_b32_e32 v5, v6
	s_lshl_b64 s[6:7], s[6:7], 4
	v_lshlrev_b64 v[0:1], 4, v[2:3]
	s_delay_alu instid0(VALU_DEP_2) | instskip(NEXT) | instid1(VALU_DEP_2)
	v_lshlrev_b64 v[2:3], 4, v[4:5]
	v_add_co_u32 v8, vcc_lo, s3, v0
	s_delay_alu instid0(VALU_DEP_3)
	v_add_co_ci_u32_e32 v9, vcc_lo, s8, v1, vcc_lo
	s_waitcnt lgkmcnt(0)
	s_add_u32 s3, s4, s6
	s_addc_u32 s4, s5, s7
	v_add_co_u32 v10, vcc_lo, s3, v2
	v_add_co_ci_u32_e32 v11, vcc_lo, s4, v3, vcc_lo
	s_load_b256 s[4:11], s[0:1], 0x48
	global_load_b128 v[0:3], v[8:9], off
	global_load_b128 v[4:7], v[10:11], off
	s_waitcnt lgkmcnt(0)
	s_mul_i32 s1, s2, s11
	s_mul_hi_u32 s3, s2, s10
	s_mul_i32 s0, s2, s10
	s_add_i32 s1, s3, s1
	s_mul_hi_u32 s3, s2, s6
	s_lshl_b64 s[0:1], s[0:1], 3
	s_delay_alu instid0(SALU_CYCLE_1)
	s_add_u32 s0, s8, s0
	s_addc_u32 s1, s9, s1
	s_load_b64 s[0:1], s[0:1], 0x0
	s_waitcnt vmcnt(1) lgkmcnt(0)
	v_mul_f64 v[12:13], s[0:1], v[0:1]
	s_waitcnt vmcnt(0)
	v_mul_f64 v[14:15], s[0:1], v[4:5]
	v_mul_f64 v[16:17], s[0:1], v[6:7]
	v_mul_f64 v[18:19], s[0:1], v[2:3]
	s_mul_i32 s1, s2, s7
	s_mul_i32 s0, s2, s6
	s_add_i32 s1, s3, s1
	s_delay_alu instid0(SALU_CYCLE_1) | instskip(NEXT) | instid1(SALU_CYCLE_1)
	s_lshl_b64 s[0:1], s[0:1], 3
	s_add_u32 s0, s4, s0
	s_addc_u32 s1, s5, s1
	s_load_b64 s[0:1], s[0:1], 0x0
	s_waitcnt lgkmcnt(0)
	s_delay_alu instid0(VALU_DEP_4) | instskip(NEXT) | instid1(VALU_DEP_4)
	v_fma_f64 v[4:5], s[0:1], v[4:5], v[12:13]
	v_fma_f64 v[0:1], s[0:1], v[0:1], -v[14:15]
	s_delay_alu instid0(VALU_DEP_4) | instskip(NEXT) | instid1(VALU_DEP_4)
	v_fma_f64 v[2:3], s[0:1], v[2:3], -v[16:17]
	v_fma_f64 v[6:7], s[0:1], v[6:7], v[18:19]
	global_store_b128 v[8:9], v[0:3], off
	global_store_b128 v[10:11], v[4:7], off
.LBB36_2:
	s_nop 0
	s_sendmsg sendmsg(MSG_DEALLOC_VGPRS)
	s_endpgm
	.section	.rodata,"a",@progbits
	.p2align	6, 0x0
	.amdhsa_kernel _ZL18rocblas_rot_kernelIiLi512E19rocblas_complex_numIdEPKPS1_S4_PKdS6_EviT2_lllT3_lllT4_lT5_li
		.amdhsa_group_segment_fixed_size 0
		.amdhsa_private_segment_fixed_size 0
		.amdhsa_kernarg_size 368
		.amdhsa_user_sgpr_count 14
		.amdhsa_user_sgpr_dispatch_ptr 0
		.amdhsa_user_sgpr_queue_ptr 0
		.amdhsa_user_sgpr_kernarg_segment_ptr 1
		.amdhsa_user_sgpr_dispatch_id 0
		.amdhsa_user_sgpr_private_segment_size 0
		.amdhsa_wavefront_size32 1
		.amdhsa_uses_dynamic_stack 0
		.amdhsa_enable_private_segment 0
		.amdhsa_system_sgpr_workgroup_id_x 1
		.amdhsa_system_sgpr_workgroup_id_y 0
		.amdhsa_system_sgpr_workgroup_id_z 1
		.amdhsa_system_sgpr_workgroup_info 0
		.amdhsa_system_vgpr_workitem_id 0
		.amdhsa_next_free_vgpr 20
		.amdhsa_next_free_sgpr 18
		.amdhsa_reserve_vcc 1
		.amdhsa_float_round_mode_32 0
		.amdhsa_float_round_mode_16_64 0
		.amdhsa_float_denorm_mode_32 3
		.amdhsa_float_denorm_mode_16_64 3
		.amdhsa_dx10_clamp 1
		.amdhsa_ieee_mode 1
		.amdhsa_fp16_overflow 0
		.amdhsa_workgroup_processor_mode 1
		.amdhsa_memory_ordered 1
		.amdhsa_forward_progress 0
		.amdhsa_shared_vgpr_count 0
		.amdhsa_exception_fp_ieee_invalid_op 0
		.amdhsa_exception_fp_denorm_src 0
		.amdhsa_exception_fp_ieee_div_zero 0
		.amdhsa_exception_fp_ieee_overflow 0
		.amdhsa_exception_fp_ieee_underflow 0
		.amdhsa_exception_fp_ieee_inexact 0
		.amdhsa_exception_int_div_zero 0
	.end_amdhsa_kernel
	.section	.text._ZL18rocblas_rot_kernelIiLi512E19rocblas_complex_numIdEPKPS1_S4_PKdS6_EviT2_lllT3_lllT4_lT5_li,"axG",@progbits,_ZL18rocblas_rot_kernelIiLi512E19rocblas_complex_numIdEPKPS1_S4_PKdS6_EviT2_lllT3_lllT4_lT5_li,comdat
.Lfunc_end36:
	.size	_ZL18rocblas_rot_kernelIiLi512E19rocblas_complex_numIdEPKPS1_S4_PKdS6_EviT2_lllT3_lllT4_lT5_li, .Lfunc_end36-_ZL18rocblas_rot_kernelIiLi512E19rocblas_complex_numIdEPKPS1_S4_PKdS6_EviT2_lllT3_lllT4_lT5_li
                                        ; -- End function
	.section	.AMDGPU.csdata,"",@progbits
; Kernel info:
; codeLenInByte = 516
; NumSgprs: 20
; NumVgprs: 20
; ScratchSize: 0
; MemoryBound: 0
; FloatMode: 240
; IeeeMode: 1
; LDSByteSize: 0 bytes/workgroup (compile time only)
; SGPRBlocks: 2
; VGPRBlocks: 2
; NumSGPRsForWavesPerEU: 20
; NumVGPRsForWavesPerEU: 20
; Occupancy: 16
; WaveLimiterHint : 1
; COMPUTE_PGM_RSRC2:SCRATCH_EN: 0
; COMPUTE_PGM_RSRC2:USER_SGPR: 14
; COMPUTE_PGM_RSRC2:TRAP_HANDLER: 0
; COMPUTE_PGM_RSRC2:TGID_X_EN: 1
; COMPUTE_PGM_RSRC2:TGID_Y_EN: 0
; COMPUTE_PGM_RSRC2:TGID_Z_EN: 1
; COMPUTE_PGM_RSRC2:TIDIG_COMP_CNT: 0
	.section	.text._ZL18rocblas_rot_kernelIiLi512E19rocblas_complex_numIdEPKPS1_S4_ddEviT2_lllT3_lllT4_lT5_li,"axG",@progbits,_ZL18rocblas_rot_kernelIiLi512E19rocblas_complex_numIdEPKPS1_S4_ddEviT2_lllT3_lllT4_lT5_li,comdat
	.globl	_ZL18rocblas_rot_kernelIiLi512E19rocblas_complex_numIdEPKPS1_S4_ddEviT2_lllT3_lllT4_lT5_li ; -- Begin function _ZL18rocblas_rot_kernelIiLi512E19rocblas_complex_numIdEPKPS1_S4_ddEviT2_lllT3_lllT4_lT5_li
	.p2align	8
	.type	_ZL18rocblas_rot_kernelIiLi512E19rocblas_complex_numIdEPKPS1_S4_ddEviT2_lllT3_lllT4_lT5_li,@function
_ZL18rocblas_rot_kernelIiLi512E19rocblas_complex_numIdEPKPS1_S4_ddEviT2_lllT3_lllT4_lT5_li: ; @_ZL18rocblas_rot_kernelIiLi512E19rocblas_complex_numIdEPKPS1_S4_ddEviT2_lllT3_lllT4_lT5_li
; %bb.0:
	s_clause 0x1
	s_load_b32 s3, s[0:1], 0x7c
	s_load_b32 s4, s[0:1], 0x0
	s_waitcnt lgkmcnt(0)
	s_and_b32 s3, s3, 0xffff
	s_ashr_i32 s5, s4, 31
	v_mad_u64_u32 v[1:2], null, s14, s3, v[0:1]
	v_mov_b32_e32 v2, 0
	s_mov_b32 s3, exec_lo
	s_delay_alu instid0(VALU_DEP_1)
	v_cmpx_gt_i64_e64 s[4:5], v[1:2]
	s_cbranch_execz .LBB37_2
; %bb.1:
	s_mov_b32 s2, s15
	s_clause 0x2
	s_load_b128 s[4:7], s[0:1], 0x28
	s_load_b64 s[12:13], s[0:1], 0x38
	s_load_b64 s[14:15], s[0:1], 0x18
	s_mov_b32 s3, 0
	s_delay_alu instid0(SALU_CYCLE_1)
	s_lshl_b64 s[2:3], s[2:3], 3
	s_waitcnt lgkmcnt(0)
	s_add_u32 s4, s4, s2
	s_addc_u32 s5, s5, s3
	s_load_b64 s[4:5], s[4:5], 0x0
	s_load_b128 s[8:11], s[0:1], 0x8
	v_mad_u64_u32 v[2:3], null, v1, s12, 0
	v_mad_u64_u32 v[4:5], null, v1, s14, 0
	s_lshl_b64 s[6:7], s[6:7], 4
	s_delay_alu instid0(VALU_DEP_1) | instskip(NEXT) | instid1(VALU_DEP_1)
	v_dual_mov_b32 v0, v3 :: v_dual_mov_b32 v3, v5
	v_mad_u64_u32 v[5:6], null, v1, s13, v[0:1]
	s_delay_alu instid0(VALU_DEP_2)
	v_mad_u64_u32 v[6:7], null, v1, s15, v[3:4]
	s_waitcnt lgkmcnt(0)
	s_add_u32 s6, s4, s6
	s_addc_u32 s7, s5, s7
	s_add_u32 s2, s8, s2
	s_addc_u32 s3, s9, s3
	s_delay_alu instid0(VALU_DEP_2) | instskip(SKIP_3) | instid1(VALU_DEP_2)
	v_mov_b32_e32 v3, v5
	s_load_b64 s[2:3], s[2:3], 0x0
	v_mov_b32_e32 v5, v6
	s_lshl_b64 s[4:5], s[10:11], 4
	v_lshlrev_b64 v[0:1], 4, v[2:3]
	s_delay_alu instid0(VALU_DEP_2) | instskip(NEXT) | instid1(VALU_DEP_2)
	v_lshlrev_b64 v[2:3], 4, v[4:5]
	v_add_co_u32 v8, vcc_lo, s6, v0
	s_delay_alu instid0(VALU_DEP_3)
	v_add_co_ci_u32_e32 v9, vcc_lo, s7, v1, vcc_lo
	s_waitcnt lgkmcnt(0)
	s_add_u32 s2, s2, s4
	s_addc_u32 s3, s3, s5
	v_add_co_u32 v10, vcc_lo, s2, v2
	v_add_co_ci_u32_e32 v11, vcc_lo, s3, v3, vcc_lo
	s_load_b64 s[2:3], s[0:1], 0x58
	global_load_b128 v[0:3], v[8:9], off
	global_load_b128 v[4:7], v[10:11], off
	s_load_b64 s[0:1], s[0:1], 0x48
	s_waitcnt vmcnt(1) lgkmcnt(0)
	v_mul_f64 v[12:13], v[0:1], s[2:3]
	s_waitcnt vmcnt(0)
	v_mul_f64 v[14:15], v[4:5], s[2:3]
	v_mul_f64 v[16:17], v[6:7], s[2:3]
	v_mul_f64 v[18:19], v[2:3], s[2:3]
	s_delay_alu instid0(VALU_DEP_4) | instskip(NEXT) | instid1(VALU_DEP_4)
	v_fma_f64 v[4:5], v[4:5], s[0:1], v[12:13]
	v_fma_f64 v[0:1], v[0:1], s[0:1], -v[14:15]
	s_delay_alu instid0(VALU_DEP_4) | instskip(NEXT) | instid1(VALU_DEP_4)
	v_fma_f64 v[2:3], v[2:3], s[0:1], -v[16:17]
	v_fma_f64 v[6:7], v[6:7], s[0:1], v[18:19]
	global_store_b128 v[8:9], v[0:3], off
	global_store_b128 v[10:11], v[4:7], off
.LBB37_2:
	s_nop 0
	s_sendmsg sendmsg(MSG_DEALLOC_VGPRS)
	s_endpgm
	.section	.rodata,"a",@progbits
	.p2align	6, 0x0
	.amdhsa_kernel _ZL18rocblas_rot_kernelIiLi512E19rocblas_complex_numIdEPKPS1_S4_ddEviT2_lllT3_lllT4_lT5_li
		.amdhsa_group_segment_fixed_size 0
		.amdhsa_private_segment_fixed_size 0
		.amdhsa_kernarg_size 368
		.amdhsa_user_sgpr_count 14
		.amdhsa_user_sgpr_dispatch_ptr 0
		.amdhsa_user_sgpr_queue_ptr 0
		.amdhsa_user_sgpr_kernarg_segment_ptr 1
		.amdhsa_user_sgpr_dispatch_id 0
		.amdhsa_user_sgpr_private_segment_size 0
		.amdhsa_wavefront_size32 1
		.amdhsa_uses_dynamic_stack 0
		.amdhsa_enable_private_segment 0
		.amdhsa_system_sgpr_workgroup_id_x 1
		.amdhsa_system_sgpr_workgroup_id_y 0
		.amdhsa_system_sgpr_workgroup_id_z 1
		.amdhsa_system_sgpr_workgroup_info 0
		.amdhsa_system_vgpr_workitem_id 0
		.amdhsa_next_free_vgpr 20
		.amdhsa_next_free_sgpr 16
		.amdhsa_reserve_vcc 1
		.amdhsa_float_round_mode_32 0
		.amdhsa_float_round_mode_16_64 0
		.amdhsa_float_denorm_mode_32 3
		.amdhsa_float_denorm_mode_16_64 3
		.amdhsa_dx10_clamp 1
		.amdhsa_ieee_mode 1
		.amdhsa_fp16_overflow 0
		.amdhsa_workgroup_processor_mode 1
		.amdhsa_memory_ordered 1
		.amdhsa_forward_progress 0
		.amdhsa_shared_vgpr_count 0
		.amdhsa_exception_fp_ieee_invalid_op 0
		.amdhsa_exception_fp_denorm_src 0
		.amdhsa_exception_fp_ieee_div_zero 0
		.amdhsa_exception_fp_ieee_overflow 0
		.amdhsa_exception_fp_ieee_underflow 0
		.amdhsa_exception_fp_ieee_inexact 0
		.amdhsa_exception_int_div_zero 0
	.end_amdhsa_kernel
	.section	.text._ZL18rocblas_rot_kernelIiLi512E19rocblas_complex_numIdEPKPS1_S4_ddEviT2_lllT3_lllT4_lT5_li,"axG",@progbits,_ZL18rocblas_rot_kernelIiLi512E19rocblas_complex_numIdEPKPS1_S4_ddEviT2_lllT3_lllT4_lT5_li,comdat
.Lfunc_end37:
	.size	_ZL18rocblas_rot_kernelIiLi512E19rocblas_complex_numIdEPKPS1_S4_ddEviT2_lllT3_lllT4_lT5_li, .Lfunc_end37-_ZL18rocblas_rot_kernelIiLi512E19rocblas_complex_numIdEPKPS1_S4_ddEviT2_lllT3_lllT4_lT5_li
                                        ; -- End function
	.section	.AMDGPU.csdata,"",@progbits
; Kernel info:
; codeLenInByte = 436
; NumSgprs: 18
; NumVgprs: 20
; ScratchSize: 0
; MemoryBound: 0
; FloatMode: 240
; IeeeMode: 1
; LDSByteSize: 0 bytes/workgroup (compile time only)
; SGPRBlocks: 2
; VGPRBlocks: 2
; NumSGPRsForWavesPerEU: 18
; NumVGPRsForWavesPerEU: 20
; Occupancy: 16
; WaveLimiterHint : 1
; COMPUTE_PGM_RSRC2:SCRATCH_EN: 0
; COMPUTE_PGM_RSRC2:USER_SGPR: 14
; COMPUTE_PGM_RSRC2:TRAP_HANDLER: 0
; COMPUTE_PGM_RSRC2:TGID_X_EN: 1
; COMPUTE_PGM_RSRC2:TGID_Y_EN: 0
; COMPUTE_PGM_RSRC2:TGID_Z_EN: 1
; COMPUTE_PGM_RSRC2:TIDIG_COMP_CNT: 0
	.section	.text._ZL18rocblas_rot_kernelIiLi512E19rocblas_complex_numIdEPKPS1_S4_PKdPKS1_EviT2_lllT3_lllT4_lT5_li,"axG",@progbits,_ZL18rocblas_rot_kernelIiLi512E19rocblas_complex_numIdEPKPS1_S4_PKdPKS1_EviT2_lllT3_lllT4_lT5_li,comdat
	.globl	_ZL18rocblas_rot_kernelIiLi512E19rocblas_complex_numIdEPKPS1_S4_PKdPKS1_EviT2_lllT3_lllT4_lT5_li ; -- Begin function _ZL18rocblas_rot_kernelIiLi512E19rocblas_complex_numIdEPKPS1_S4_PKdPKS1_EviT2_lllT3_lllT4_lT5_li
	.p2align	8
	.type	_ZL18rocblas_rot_kernelIiLi512E19rocblas_complex_numIdEPKPS1_S4_PKdPKS1_EviT2_lllT3_lllT4_lT5_li,@function
_ZL18rocblas_rot_kernelIiLi512E19rocblas_complex_numIdEPKPS1_S4_PKdPKS1_EviT2_lllT3_lllT4_lT5_li: ; @_ZL18rocblas_rot_kernelIiLi512E19rocblas_complex_numIdEPKPS1_S4_PKdPKS1_EviT2_lllT3_lllT4_lT5_li
; %bb.0:
	s_clause 0x1
	s_load_b32 s3, s[0:1], 0x7c
	s_load_b32 s4, s[0:1], 0x0
	s_waitcnt lgkmcnt(0)
	s_and_b32 s3, s3, 0xffff
	s_ashr_i32 s5, s4, 31
	v_mad_u64_u32 v[1:2], null, s14, s3, v[0:1]
	v_mov_b32_e32 v2, 0
	s_mov_b32 s3, exec_lo
	s_delay_alu instid0(VALU_DEP_1)
	v_cmpx_gt_i64_e64 s[4:5], v[1:2]
	s_cbranch_execz .LBB38_2
; %bb.1:
	s_mov_b32 s2, s15
	s_clause 0x2
	s_load_b128 s[8:11], s[0:1], 0x28
	s_load_b64 s[12:13], s[0:1], 0x38
	s_load_b64 s[14:15], s[0:1], 0x18
	s_mov_b32 s3, 0
	s_delay_alu instid0(SALU_CYCLE_1)
	s_lshl_b64 s[16:17], s[2:3], 3
	s_waitcnt lgkmcnt(0)
	s_add_u32 s4, s8, s16
	s_addc_u32 s5, s9, s17
	s_load_b64 s[8:9], s[4:5], 0x0
	s_load_b128 s[4:7], s[0:1], 0x8
	v_mad_u64_u32 v[2:3], null, v1, s12, 0
	v_mad_u64_u32 v[4:5], null, v1, s14, 0
	s_lshl_b64 s[10:11], s[10:11], 4
	s_delay_alu instid0(VALU_DEP_1) | instskip(NEXT) | instid1(VALU_DEP_1)
	v_dual_mov_b32 v0, v3 :: v_dual_mov_b32 v3, v5
	v_mad_u64_u32 v[5:6], null, v1, s13, v[0:1]
	s_delay_alu instid0(VALU_DEP_2)
	v_mad_u64_u32 v[6:7], null, v1, s15, v[3:4]
	s_waitcnt lgkmcnt(0)
	s_add_u32 s3, s8, s10
	s_addc_u32 s8, s9, s11
	s_add_u32 s4, s4, s16
	s_addc_u32 s5, s5, s17
	s_delay_alu instid0(VALU_DEP_2) | instskip(SKIP_3) | instid1(VALU_DEP_2)
	v_mov_b32_e32 v3, v5
	s_load_b64 s[4:5], s[4:5], 0x0
	v_mov_b32_e32 v5, v6
	s_lshl_b64 s[6:7], s[6:7], 4
	v_lshlrev_b64 v[0:1], 4, v[2:3]
	s_delay_alu instid0(VALU_DEP_2) | instskip(NEXT) | instid1(VALU_DEP_2)
	v_lshlrev_b64 v[2:3], 4, v[4:5]
	v_add_co_u32 v8, vcc_lo, s3, v0
	s_delay_alu instid0(VALU_DEP_3)
	v_add_co_ci_u32_e32 v9, vcc_lo, s8, v1, vcc_lo
	s_waitcnt lgkmcnt(0)
	s_add_u32 s3, s4, s6
	s_addc_u32 s4, s5, s7
	v_add_co_u32 v10, vcc_lo, s3, v2
	v_add_co_ci_u32_e32 v11, vcc_lo, s4, v3, vcc_lo
	s_load_b256 s[4:11], s[0:1], 0x48
	global_load_b128 v[0:3], v[8:9], off
	global_load_b128 v[4:7], v[10:11], off
	s_waitcnt lgkmcnt(0)
	s_mul_i32 s1, s2, s11
	s_mul_hi_u32 s3, s2, s10
	s_mul_i32 s0, s2, s10
	s_add_i32 s1, s3, s1
	s_mul_hi_u32 s3, s2, s6
	s_lshl_b64 s[0:1], s[0:1], 4
	s_delay_alu instid0(SALU_CYCLE_1)
	s_add_u32 s0, s8, s0
	s_addc_u32 s1, s9, s1
	s_load_b128 s[8:11], s[0:1], 0x0
	s_mul_i32 s1, s2, s7
	s_mul_i32 s0, s2, s6
	s_add_i32 s1, s3, s1
	s_delay_alu instid0(SALU_CYCLE_1) | instskip(NEXT) | instid1(SALU_CYCLE_1)
	s_lshl_b64 s[0:1], s[0:1], 3
	s_add_u32 s0, s4, s0
	s_addc_u32 s1, s5, s1
	s_load_b64 s[0:1], s[0:1], 0x0
	s_waitcnt vmcnt(1) lgkmcnt(0)
	v_mul_f64 v[12:13], s[10:11], v[2:3]
	s_waitcnt vmcnt(0)
	v_mul_f64 v[14:15], s[10:11], v[6:7]
	v_mul_f64 v[16:17], s[10:11], v[4:5]
	;; [unrolled: 1-line block ×3, first 2 shown]
	s_delay_alu instid0(VALU_DEP_4) | instskip(NEXT) | instid1(VALU_DEP_4)
	v_fma_f64 v[12:13], s[8:9], v[0:1], -v[12:13]
	v_fma_f64 v[14:15], s[8:9], v[4:5], v[14:15]
	s_delay_alu instid0(VALU_DEP_4) | instskip(NEXT) | instid1(VALU_DEP_4)
	v_fma_f64 v[16:17], s[8:9], v[6:7], -v[16:17]
	v_fma_f64 v[18:19], s[10:11], v[0:1], v[18:19]
	s_delay_alu instid0(VALU_DEP_4) | instskip(NEXT) | instid1(VALU_DEP_4)
	v_fma_f64 v[4:5], s[0:1], v[4:5], v[12:13]
	v_fma_f64 v[0:1], s[0:1], v[0:1], -v[14:15]
	s_delay_alu instid0(VALU_DEP_4) | instskip(NEXT) | instid1(VALU_DEP_4)
	v_fma_f64 v[2:3], s[0:1], v[2:3], -v[16:17]
	v_fma_f64 v[6:7], s[0:1], v[6:7], v[18:19]
	global_store_b128 v[8:9], v[0:3], off
	global_store_b128 v[10:11], v[4:7], off
.LBB38_2:
	s_nop 0
	s_sendmsg sendmsg(MSG_DEALLOC_VGPRS)
	s_endpgm
	.section	.rodata,"a",@progbits
	.p2align	6, 0x0
	.amdhsa_kernel _ZL18rocblas_rot_kernelIiLi512E19rocblas_complex_numIdEPKPS1_S4_PKdPKS1_EviT2_lllT3_lllT4_lT5_li
		.amdhsa_group_segment_fixed_size 0
		.amdhsa_private_segment_fixed_size 0
		.amdhsa_kernarg_size 368
		.amdhsa_user_sgpr_count 14
		.amdhsa_user_sgpr_dispatch_ptr 0
		.amdhsa_user_sgpr_queue_ptr 0
		.amdhsa_user_sgpr_kernarg_segment_ptr 1
		.amdhsa_user_sgpr_dispatch_id 0
		.amdhsa_user_sgpr_private_segment_size 0
		.amdhsa_wavefront_size32 1
		.amdhsa_uses_dynamic_stack 0
		.amdhsa_enable_private_segment 0
		.amdhsa_system_sgpr_workgroup_id_x 1
		.amdhsa_system_sgpr_workgroup_id_y 0
		.amdhsa_system_sgpr_workgroup_id_z 1
		.amdhsa_system_sgpr_workgroup_info 0
		.amdhsa_system_vgpr_workitem_id 0
		.amdhsa_next_free_vgpr 20
		.amdhsa_next_free_sgpr 18
		.amdhsa_reserve_vcc 1
		.amdhsa_float_round_mode_32 0
		.amdhsa_float_round_mode_16_64 0
		.amdhsa_float_denorm_mode_32 3
		.amdhsa_float_denorm_mode_16_64 3
		.amdhsa_dx10_clamp 1
		.amdhsa_ieee_mode 1
		.amdhsa_fp16_overflow 0
		.amdhsa_workgroup_processor_mode 1
		.amdhsa_memory_ordered 1
		.amdhsa_forward_progress 0
		.amdhsa_shared_vgpr_count 0
		.amdhsa_exception_fp_ieee_invalid_op 0
		.amdhsa_exception_fp_denorm_src 0
		.amdhsa_exception_fp_ieee_div_zero 0
		.amdhsa_exception_fp_ieee_overflow 0
		.amdhsa_exception_fp_ieee_underflow 0
		.amdhsa_exception_fp_ieee_inexact 0
		.amdhsa_exception_int_div_zero 0
	.end_amdhsa_kernel
	.section	.text._ZL18rocblas_rot_kernelIiLi512E19rocblas_complex_numIdEPKPS1_S4_PKdPKS1_EviT2_lllT3_lllT4_lT5_li,"axG",@progbits,_ZL18rocblas_rot_kernelIiLi512E19rocblas_complex_numIdEPKPS1_S4_PKdPKS1_EviT2_lllT3_lllT4_lT5_li,comdat
.Lfunc_end38:
	.size	_ZL18rocblas_rot_kernelIiLi512E19rocblas_complex_numIdEPKPS1_S4_PKdPKS1_EviT2_lllT3_lllT4_lT5_li, .Lfunc_end38-_ZL18rocblas_rot_kernelIiLi512E19rocblas_complex_numIdEPKPS1_S4_PKdPKS1_EviT2_lllT3_lllT4_lT5_li
                                        ; -- End function
	.section	.AMDGPU.csdata,"",@progbits
; Kernel info:
; codeLenInByte = 552
; NumSgprs: 20
; NumVgprs: 20
; ScratchSize: 0
; MemoryBound: 0
; FloatMode: 240
; IeeeMode: 1
; LDSByteSize: 0 bytes/workgroup (compile time only)
; SGPRBlocks: 2
; VGPRBlocks: 2
; NumSGPRsForWavesPerEU: 20
; NumVGPRsForWavesPerEU: 20
; Occupancy: 16
; WaveLimiterHint : 1
; COMPUTE_PGM_RSRC2:SCRATCH_EN: 0
; COMPUTE_PGM_RSRC2:USER_SGPR: 14
; COMPUTE_PGM_RSRC2:TRAP_HANDLER: 0
; COMPUTE_PGM_RSRC2:TGID_X_EN: 1
; COMPUTE_PGM_RSRC2:TGID_Y_EN: 0
; COMPUTE_PGM_RSRC2:TGID_Z_EN: 1
; COMPUTE_PGM_RSRC2:TIDIG_COMP_CNT: 0
	.section	.text._ZL18rocblas_rot_kernelIiLi512E19rocblas_complex_numIdEPKPS1_S4_dS1_EviT2_lllT3_lllT4_lT5_li,"axG",@progbits,_ZL18rocblas_rot_kernelIiLi512E19rocblas_complex_numIdEPKPS1_S4_dS1_EviT2_lllT3_lllT4_lT5_li,comdat
	.globl	_ZL18rocblas_rot_kernelIiLi512E19rocblas_complex_numIdEPKPS1_S4_dS1_EviT2_lllT3_lllT4_lT5_li ; -- Begin function _ZL18rocblas_rot_kernelIiLi512E19rocblas_complex_numIdEPKPS1_S4_dS1_EviT2_lllT3_lllT4_lT5_li
	.p2align	8
	.type	_ZL18rocblas_rot_kernelIiLi512E19rocblas_complex_numIdEPKPS1_S4_dS1_EviT2_lllT3_lllT4_lT5_li,@function
_ZL18rocblas_rot_kernelIiLi512E19rocblas_complex_numIdEPKPS1_S4_dS1_EviT2_lllT3_lllT4_lT5_li: ; @_ZL18rocblas_rot_kernelIiLi512E19rocblas_complex_numIdEPKPS1_S4_dS1_EviT2_lllT3_lllT4_lT5_li
; %bb.0:
	s_clause 0x1
	s_load_b32 s3, s[0:1], 0x84
	s_load_b32 s4, s[0:1], 0x0
	s_waitcnt lgkmcnt(0)
	s_and_b32 s3, s3, 0xffff
	s_ashr_i32 s5, s4, 31
	v_mad_u64_u32 v[1:2], null, s14, s3, v[0:1]
	v_mov_b32_e32 v2, 0
	s_mov_b32 s3, exec_lo
	s_delay_alu instid0(VALU_DEP_1)
	v_cmpx_gt_i64_e64 s[4:5], v[1:2]
	s_cbranch_execz .LBB39_2
; %bb.1:
	s_mov_b32 s2, s15
	s_clause 0x2
	s_load_b128 s[8:11], s[0:1], 0x28
	s_load_b64 s[12:13], s[0:1], 0x38
	s_load_b64 s[14:15], s[0:1], 0x18
	s_mov_b32 s3, 0
	s_delay_alu instid0(SALU_CYCLE_1)
	s_lshl_b64 s[2:3], s[2:3], 3
	s_waitcnt lgkmcnt(0)
	s_add_u32 s4, s8, s2
	s_addc_u32 s5, s9, s3
	s_load_b64 s[8:9], s[4:5], 0x0
	s_load_b128 s[4:7], s[0:1], 0x8
	v_mad_u64_u32 v[2:3], null, v1, s12, 0
	v_mad_u64_u32 v[4:5], null, v1, s14, 0
	s_lshl_b64 s[10:11], s[10:11], 4
	s_delay_alu instid0(VALU_DEP_1) | instskip(NEXT) | instid1(VALU_DEP_1)
	v_dual_mov_b32 v0, v3 :: v_dual_mov_b32 v3, v5
	v_mad_u64_u32 v[5:6], null, v1, s13, v[0:1]
	s_delay_alu instid0(VALU_DEP_2)
	v_mad_u64_u32 v[6:7], null, v1, s15, v[3:4]
	s_waitcnt lgkmcnt(0)
	s_add_u32 s8, s8, s10
	s_addc_u32 s9, s9, s11
	s_add_u32 s2, s4, s2
	s_addc_u32 s3, s5, s3
	s_delay_alu instid0(VALU_DEP_2) | instskip(SKIP_3) | instid1(VALU_DEP_2)
	v_mov_b32_e32 v3, v5
	s_load_b64 s[2:3], s[2:3], 0x0
	v_mov_b32_e32 v5, v6
	s_lshl_b64 s[4:5], s[6:7], 4
	v_lshlrev_b64 v[0:1], 4, v[2:3]
	s_delay_alu instid0(VALU_DEP_2) | instskip(NEXT) | instid1(VALU_DEP_2)
	v_lshlrev_b64 v[2:3], 4, v[4:5]
	v_add_co_u32 v8, vcc_lo, s8, v0
	s_delay_alu instid0(VALU_DEP_3)
	v_add_co_ci_u32_e32 v9, vcc_lo, s9, v1, vcc_lo
	s_waitcnt lgkmcnt(0)
	s_add_u32 s2, s2, s4
	s_addc_u32 s3, s3, s5
	v_add_co_u32 v10, vcc_lo, s2, v2
	v_add_co_ci_u32_e32 v11, vcc_lo, s3, v3, vcc_lo
	s_load_b128 s[4:7], s[0:1], 0x58
	global_load_b128 v[0:3], v[8:9], off
	global_load_b128 v[4:7], v[10:11], off
	s_load_b64 s[0:1], s[0:1], 0x48
	s_waitcnt vmcnt(1) lgkmcnt(0)
	v_mul_f64 v[12:13], s[6:7], v[2:3]
	s_waitcnt vmcnt(0)
	v_mul_f64 v[14:15], s[6:7], v[6:7]
	v_mul_f64 v[16:17], s[6:7], v[4:5]
	v_mul_f64 v[18:19], s[4:5], v[2:3]
	s_delay_alu instid0(VALU_DEP_4) | instskip(NEXT) | instid1(VALU_DEP_4)
	v_fma_f64 v[12:13], s[4:5], v[0:1], -v[12:13]
	v_fma_f64 v[14:15], s[4:5], v[4:5], v[14:15]
	s_delay_alu instid0(VALU_DEP_4) | instskip(NEXT) | instid1(VALU_DEP_4)
	v_fma_f64 v[16:17], s[4:5], v[6:7], -v[16:17]
	v_fma_f64 v[18:19], s[6:7], v[0:1], v[18:19]
	s_delay_alu instid0(VALU_DEP_4) | instskip(NEXT) | instid1(VALU_DEP_4)
	v_fma_f64 v[4:5], v[4:5], s[0:1], v[12:13]
	v_fma_f64 v[0:1], v[0:1], s[0:1], -v[14:15]
	s_delay_alu instid0(VALU_DEP_4) | instskip(NEXT) | instid1(VALU_DEP_4)
	v_fma_f64 v[2:3], v[2:3], s[0:1], -v[16:17]
	v_fma_f64 v[6:7], v[6:7], s[0:1], v[18:19]
	global_store_b128 v[8:9], v[0:3], off
	global_store_b128 v[10:11], v[4:7], off
.LBB39_2:
	s_nop 0
	s_sendmsg sendmsg(MSG_DEALLOC_VGPRS)
	s_endpgm
	.section	.rodata,"a",@progbits
	.p2align	6, 0x0
	.amdhsa_kernel _ZL18rocblas_rot_kernelIiLi512E19rocblas_complex_numIdEPKPS1_S4_dS1_EviT2_lllT3_lllT4_lT5_li
		.amdhsa_group_segment_fixed_size 0
		.amdhsa_private_segment_fixed_size 0
		.amdhsa_kernarg_size 376
		.amdhsa_user_sgpr_count 14
		.amdhsa_user_sgpr_dispatch_ptr 0
		.amdhsa_user_sgpr_queue_ptr 0
		.amdhsa_user_sgpr_kernarg_segment_ptr 1
		.amdhsa_user_sgpr_dispatch_id 0
		.amdhsa_user_sgpr_private_segment_size 0
		.amdhsa_wavefront_size32 1
		.amdhsa_uses_dynamic_stack 0
		.amdhsa_enable_private_segment 0
		.amdhsa_system_sgpr_workgroup_id_x 1
		.amdhsa_system_sgpr_workgroup_id_y 0
		.amdhsa_system_sgpr_workgroup_id_z 1
		.amdhsa_system_sgpr_workgroup_info 0
		.amdhsa_system_vgpr_workitem_id 0
		.amdhsa_next_free_vgpr 20
		.amdhsa_next_free_sgpr 16
		.amdhsa_reserve_vcc 1
		.amdhsa_float_round_mode_32 0
		.amdhsa_float_round_mode_16_64 0
		.amdhsa_float_denorm_mode_32 3
		.amdhsa_float_denorm_mode_16_64 3
		.amdhsa_dx10_clamp 1
		.amdhsa_ieee_mode 1
		.amdhsa_fp16_overflow 0
		.amdhsa_workgroup_processor_mode 1
		.amdhsa_memory_ordered 1
		.amdhsa_forward_progress 0
		.amdhsa_shared_vgpr_count 0
		.amdhsa_exception_fp_ieee_invalid_op 0
		.amdhsa_exception_fp_denorm_src 0
		.amdhsa_exception_fp_ieee_div_zero 0
		.amdhsa_exception_fp_ieee_overflow 0
		.amdhsa_exception_fp_ieee_underflow 0
		.amdhsa_exception_fp_ieee_inexact 0
		.amdhsa_exception_int_div_zero 0
	.end_amdhsa_kernel
	.section	.text._ZL18rocblas_rot_kernelIiLi512E19rocblas_complex_numIdEPKPS1_S4_dS1_EviT2_lllT3_lllT4_lT5_li,"axG",@progbits,_ZL18rocblas_rot_kernelIiLi512E19rocblas_complex_numIdEPKPS1_S4_dS1_EviT2_lllT3_lllT4_lT5_li,comdat
.Lfunc_end39:
	.size	_ZL18rocblas_rot_kernelIiLi512E19rocblas_complex_numIdEPKPS1_S4_dS1_EviT2_lllT3_lllT4_lT5_li, .Lfunc_end39-_ZL18rocblas_rot_kernelIiLi512E19rocblas_complex_numIdEPKPS1_S4_dS1_EviT2_lllT3_lllT4_lT5_li
                                        ; -- End function
	.section	.AMDGPU.csdata,"",@progbits
; Kernel info:
; codeLenInByte = 476
; NumSgprs: 18
; NumVgprs: 20
; ScratchSize: 0
; MemoryBound: 0
; FloatMode: 240
; IeeeMode: 1
; LDSByteSize: 0 bytes/workgroup (compile time only)
; SGPRBlocks: 2
; VGPRBlocks: 2
; NumSGPRsForWavesPerEU: 18
; NumVGPRsForWavesPerEU: 20
; Occupancy: 16
; WaveLimiterHint : 1
; COMPUTE_PGM_RSRC2:SCRATCH_EN: 0
; COMPUTE_PGM_RSRC2:USER_SGPR: 14
; COMPUTE_PGM_RSRC2:TRAP_HANDLER: 0
; COMPUTE_PGM_RSRC2:TGID_X_EN: 1
; COMPUTE_PGM_RSRC2:TGID_Y_EN: 0
; COMPUTE_PGM_RSRC2:TGID_Z_EN: 1
; COMPUTE_PGM_RSRC2:TIDIG_COMP_CNT: 0
	.text
	.p2alignl 7, 3214868480
	.fill 96, 4, 3214868480
	.type	__hip_cuid_d8fd6b9d7272cf69,@object ; @__hip_cuid_d8fd6b9d7272cf69
	.section	.bss,"aw",@nobits
	.globl	__hip_cuid_d8fd6b9d7272cf69
__hip_cuid_d8fd6b9d7272cf69:
	.byte	0                               ; 0x0
	.size	__hip_cuid_d8fd6b9d7272cf69, 1

	.ident	"AMD clang version 19.0.0git (https://github.com/RadeonOpenCompute/llvm-project roc-6.4.0 25133 c7fe45cf4b819c5991fe208aaa96edf142730f1d)"
	.section	".note.GNU-stack","",@progbits
	.addrsig
	.addrsig_sym __hip_cuid_d8fd6b9d7272cf69
	.amdgpu_metadata
---
amdhsa.kernels:
  - .args:
      - .offset:         0
        .size:           4
        .value_kind:     by_value
      - .address_space:  global
        .offset:         8
        .size:           8
        .value_kind:     global_buffer
      - .offset:         16
        .size:           8
        .value_kind:     by_value
      - .offset:         24
        .size:           8
        .value_kind:     by_value
      - .offset:         32
        .size:           8
        .value_kind:     by_value
      - .address_space:  global
        .offset:         40
        .size:           8
        .value_kind:     global_buffer
      - .offset:         48
        .size:           8
        .value_kind:     by_value
      - .offset:         56
        .size:           8
        .value_kind:     by_value
      - .offset:         64
        .size:           8
        .value_kind:     by_value
      - .address_space:  global
        .offset:         72
        .size:           8
        .value_kind:     global_buffer
      - .offset:         80
        .size:           8
        .value_kind:     by_value
      - .address_space:  global
        .offset:         88
        .size:           8
        .value_kind:     global_buffer
      - .offset:         96
        .size:           8
        .value_kind:     by_value
      - .offset:         104
        .size:           4
        .value_kind:     by_value
      - .offset:         112
        .size:           4
        .value_kind:     hidden_block_count_x
      - .offset:         116
        .size:           4
        .value_kind:     hidden_block_count_y
      - .offset:         120
        .size:           4
        .value_kind:     hidden_block_count_z
      - .offset:         124
        .size:           2
        .value_kind:     hidden_group_size_x
      - .offset:         126
        .size:           2
        .value_kind:     hidden_group_size_y
      - .offset:         128
        .size:           2
        .value_kind:     hidden_group_size_z
      - .offset:         130
        .size:           2
        .value_kind:     hidden_remainder_x
      - .offset:         132
        .size:           2
        .value_kind:     hidden_remainder_y
      - .offset:         134
        .size:           2
        .value_kind:     hidden_remainder_z
      - .offset:         152
        .size:           8
        .value_kind:     hidden_global_offset_x
      - .offset:         160
        .size:           8
        .value_kind:     hidden_global_offset_y
      - .offset:         168
        .size:           8
        .value_kind:     hidden_global_offset_z
      - .offset:         176
        .size:           2
        .value_kind:     hidden_grid_dims
    .group_segment_fixed_size: 0
    .kernarg_segment_align: 8
    .kernarg_segment_size: 368
    .language:       OpenCL C
    .language_version:
      - 2
      - 0
    .max_flat_workgroup_size: 512
    .name:           _ZL18rocblas_rot_kernelIiLi512EfPfS0_PKfS2_EviT2_lllT3_lllT4_lT5_li
    .private_segment_fixed_size: 0
    .sgpr_count:     34
    .sgpr_spill_count: 0
    .symbol:         _ZL18rocblas_rot_kernelIiLi512EfPfS0_PKfS2_EviT2_lllT3_lllT4_lT5_li.kd
    .uniform_work_group_size: 1
    .uses_dynamic_stack: false
    .vgpr_count:     8
    .vgpr_spill_count: 0
    .wavefront_size: 32
    .workgroup_processor_mode: 1
  - .args:
      - .offset:         0
        .size:           4
        .value_kind:     by_value
      - .address_space:  global
        .offset:         8
        .size:           8
        .value_kind:     global_buffer
      - .offset:         16
        .size:           8
        .value_kind:     by_value
      - .offset:         24
        .size:           8
        .value_kind:     by_value
      - .offset:         32
        .size:           8
        .value_kind:     by_value
      - .address_space:  global
        .offset:         40
        .size:           8
        .value_kind:     global_buffer
      - .offset:         48
        .size:           8
        .value_kind:     by_value
      - .offset:         56
        .size:           8
        .value_kind:     by_value
      - .offset:         64
        .size:           8
        .value_kind:     by_value
      - .offset:         72
        .size:           4
        .value_kind:     by_value
      - .offset:         80
        .size:           8
        .value_kind:     by_value
      - .offset:         88
        .size:           4
        .value_kind:     by_value
      - .offset:         96
        .size:           8
        .value_kind:     by_value
      - .offset:         104
        .size:           4
        .value_kind:     by_value
      - .offset:         112
        .size:           4
        .value_kind:     hidden_block_count_x
      - .offset:         116
        .size:           4
        .value_kind:     hidden_block_count_y
      - .offset:         120
        .size:           4
        .value_kind:     hidden_block_count_z
      - .offset:         124
        .size:           2
        .value_kind:     hidden_group_size_x
      - .offset:         126
        .size:           2
        .value_kind:     hidden_group_size_y
      - .offset:         128
        .size:           2
        .value_kind:     hidden_group_size_z
      - .offset:         130
        .size:           2
        .value_kind:     hidden_remainder_x
      - .offset:         132
        .size:           2
        .value_kind:     hidden_remainder_y
      - .offset:         134
        .size:           2
        .value_kind:     hidden_remainder_z
      - .offset:         152
        .size:           8
        .value_kind:     hidden_global_offset_x
      - .offset:         160
        .size:           8
        .value_kind:     hidden_global_offset_y
      - .offset:         168
        .size:           8
        .value_kind:     hidden_global_offset_z
      - .offset:         176
        .size:           2
        .value_kind:     hidden_grid_dims
    .group_segment_fixed_size: 0
    .kernarg_segment_align: 8
    .kernarg_segment_size: 368
    .language:       OpenCL C
    .language_version:
      - 2
      - 0
    .max_flat_workgroup_size: 512
    .name:           _ZL18rocblas_rot_kernelIiLi512EfPfS0_ffEviT2_lllT3_lllT4_lT5_li
    .private_segment_fixed_size: 0
    .sgpr_count:     34
    .sgpr_spill_count: 0
    .symbol:         _ZL18rocblas_rot_kernelIiLi512EfPfS0_ffEviT2_lllT3_lllT4_lT5_li.kd
    .uniform_work_group_size: 1
    .uses_dynamic_stack: false
    .vgpr_count:     8
    .vgpr_spill_count: 0
    .wavefront_size: 32
    .workgroup_processor_mode: 1
  - .args:
      - .offset:         0
        .size:           4
        .value_kind:     by_value
      - .address_space:  global
        .offset:         8
        .size:           8
        .value_kind:     global_buffer
      - .offset:         16
        .size:           8
        .value_kind:     by_value
      - .offset:         24
        .size:           8
        .value_kind:     by_value
      - .offset:         32
        .size:           8
        .value_kind:     by_value
      - .address_space:  global
        .offset:         40
        .size:           8
        .value_kind:     global_buffer
      - .offset:         48
        .size:           8
        .value_kind:     by_value
      - .offset:         56
        .size:           8
        .value_kind:     by_value
      - .offset:         64
        .size:           8
        .value_kind:     by_value
      - .address_space:  global
        .offset:         72
        .size:           8
        .value_kind:     global_buffer
      - .offset:         80
        .size:           8
        .value_kind:     by_value
      - .address_space:  global
        .offset:         88
        .size:           8
        .value_kind:     global_buffer
      - .offset:         96
        .size:           8
        .value_kind:     by_value
      - .offset:         104
        .size:           4
        .value_kind:     by_value
      - .offset:         112
        .size:           4
        .value_kind:     hidden_block_count_x
      - .offset:         116
        .size:           4
        .value_kind:     hidden_block_count_y
      - .offset:         120
        .size:           4
        .value_kind:     hidden_block_count_z
      - .offset:         124
        .size:           2
        .value_kind:     hidden_group_size_x
      - .offset:         126
        .size:           2
        .value_kind:     hidden_group_size_y
      - .offset:         128
        .size:           2
        .value_kind:     hidden_group_size_z
      - .offset:         130
        .size:           2
        .value_kind:     hidden_remainder_x
      - .offset:         132
        .size:           2
        .value_kind:     hidden_remainder_y
      - .offset:         134
        .size:           2
        .value_kind:     hidden_remainder_z
      - .offset:         152
        .size:           8
        .value_kind:     hidden_global_offset_x
      - .offset:         160
        .size:           8
        .value_kind:     hidden_global_offset_y
      - .offset:         168
        .size:           8
        .value_kind:     hidden_global_offset_z
      - .offset:         176
        .size:           2
        .value_kind:     hidden_grid_dims
    .group_segment_fixed_size: 0
    .kernarg_segment_align: 8
    .kernarg_segment_size: 368
    .language:       OpenCL C
    .language_version:
      - 2
      - 0
    .max_flat_workgroup_size: 512
    .name:           _ZL18rocblas_rot_kernelIiLi512EdPdS0_PKdS2_EviT2_lllT3_lllT4_lT5_li
    .private_segment_fixed_size: 0
    .sgpr_count:     34
    .sgpr_spill_count: 0
    .symbol:         _ZL18rocblas_rot_kernelIiLi512EdPdS0_PKdS2_EviT2_lllT3_lllT4_lT5_li.kd
    .uniform_work_group_size: 1
    .uses_dynamic_stack: false
    .vgpr_count:     12
    .vgpr_spill_count: 0
    .wavefront_size: 32
    .workgroup_processor_mode: 1
  - .args:
      - .offset:         0
        .size:           4
        .value_kind:     by_value
      - .address_space:  global
        .offset:         8
        .size:           8
        .value_kind:     global_buffer
      - .offset:         16
        .size:           8
        .value_kind:     by_value
      - .offset:         24
        .size:           8
        .value_kind:     by_value
      - .offset:         32
        .size:           8
        .value_kind:     by_value
      - .address_space:  global
        .offset:         40
        .size:           8
        .value_kind:     global_buffer
      - .offset:         48
        .size:           8
        .value_kind:     by_value
      - .offset:         56
        .size:           8
        .value_kind:     by_value
      - .offset:         64
        .size:           8
        .value_kind:     by_value
      - .offset:         72
        .size:           8
        .value_kind:     by_value
      - .offset:         80
        .size:           8
        .value_kind:     by_value
      - .offset:         88
        .size:           8
        .value_kind:     by_value
      - .offset:         96
        .size:           8
        .value_kind:     by_value
      - .offset:         104
        .size:           4
        .value_kind:     by_value
      - .offset:         112
        .size:           4
        .value_kind:     hidden_block_count_x
      - .offset:         116
        .size:           4
        .value_kind:     hidden_block_count_y
      - .offset:         120
        .size:           4
        .value_kind:     hidden_block_count_z
      - .offset:         124
        .size:           2
        .value_kind:     hidden_group_size_x
      - .offset:         126
        .size:           2
        .value_kind:     hidden_group_size_y
      - .offset:         128
        .size:           2
        .value_kind:     hidden_group_size_z
      - .offset:         130
        .size:           2
        .value_kind:     hidden_remainder_x
      - .offset:         132
        .size:           2
        .value_kind:     hidden_remainder_y
      - .offset:         134
        .size:           2
        .value_kind:     hidden_remainder_z
      - .offset:         152
        .size:           8
        .value_kind:     hidden_global_offset_x
      - .offset:         160
        .size:           8
        .value_kind:     hidden_global_offset_y
      - .offset:         168
        .size:           8
        .value_kind:     hidden_global_offset_z
      - .offset:         176
        .size:           2
        .value_kind:     hidden_grid_dims
    .group_segment_fixed_size: 0
    .kernarg_segment_align: 8
    .kernarg_segment_size: 368
    .language:       OpenCL C
    .language_version:
      - 2
      - 0
    .max_flat_workgroup_size: 512
    .name:           _ZL18rocblas_rot_kernelIiLi512EdPdS0_ddEviT2_lllT3_lllT4_lT5_li
    .private_segment_fixed_size: 0
    .sgpr_count:     34
    .sgpr_spill_count: 0
    .symbol:         _ZL18rocblas_rot_kernelIiLi512EdPdS0_ddEviT2_lllT3_lllT4_lT5_li.kd
    .uniform_work_group_size: 1
    .uses_dynamic_stack: false
    .vgpr_count:     12
    .vgpr_spill_count: 0
    .wavefront_size: 32
    .workgroup_processor_mode: 1
  - .args:
      - .offset:         0
        .size:           4
        .value_kind:     by_value
      - .address_space:  global
        .offset:         8
        .size:           8
        .value_kind:     global_buffer
      - .offset:         16
        .size:           8
        .value_kind:     by_value
      - .offset:         24
        .size:           8
        .value_kind:     by_value
      - .offset:         32
        .size:           8
        .value_kind:     by_value
      - .address_space:  global
        .offset:         40
        .size:           8
        .value_kind:     global_buffer
      - .offset:         48
        .size:           8
        .value_kind:     by_value
      - .offset:         56
        .size:           8
        .value_kind:     by_value
      - .offset:         64
        .size:           8
        .value_kind:     by_value
      - .address_space:  global
        .offset:         72
        .size:           8
        .value_kind:     global_buffer
      - .offset:         80
        .size:           8
        .value_kind:     by_value
      - .address_space:  global
        .offset:         88
        .size:           8
        .value_kind:     global_buffer
      - .offset:         96
        .size:           8
        .value_kind:     by_value
      - .offset:         104
        .size:           4
        .value_kind:     by_value
      - .offset:         112
        .size:           4
        .value_kind:     hidden_block_count_x
      - .offset:         116
        .size:           4
        .value_kind:     hidden_block_count_y
      - .offset:         120
        .size:           4
        .value_kind:     hidden_block_count_z
      - .offset:         124
        .size:           2
        .value_kind:     hidden_group_size_x
      - .offset:         126
        .size:           2
        .value_kind:     hidden_group_size_y
      - .offset:         128
        .size:           2
        .value_kind:     hidden_group_size_z
      - .offset:         130
        .size:           2
        .value_kind:     hidden_remainder_x
      - .offset:         132
        .size:           2
        .value_kind:     hidden_remainder_y
      - .offset:         134
        .size:           2
        .value_kind:     hidden_remainder_z
      - .offset:         152
        .size:           8
        .value_kind:     hidden_global_offset_x
      - .offset:         160
        .size:           8
        .value_kind:     hidden_global_offset_y
      - .offset:         168
        .size:           8
        .value_kind:     hidden_global_offset_z
      - .offset:         176
        .size:           2
        .value_kind:     hidden_grid_dims
    .group_segment_fixed_size: 0
    .kernarg_segment_align: 8
    .kernarg_segment_size: 368
    .language:       OpenCL C
    .language_version:
      - 2
      - 0
    .max_flat_workgroup_size: 512
    .name:           _ZL18rocblas_rot_kernelIiLi512EfP16rocblas_bfloat16S1_PKS0_S3_EviT2_lllT3_lllT4_lT5_li
    .private_segment_fixed_size: 0
    .sgpr_count:     34
    .sgpr_spill_count: 0
    .symbol:         _ZL18rocblas_rot_kernelIiLi512EfP16rocblas_bfloat16S1_PKS0_S3_EviT2_lllT3_lllT4_lT5_li.kd
    .uniform_work_group_size: 1
    .uses_dynamic_stack: false
    .vgpr_count:     12
    .vgpr_spill_count: 0
    .wavefront_size: 32
    .workgroup_processor_mode: 1
  - .args:
      - .offset:         0
        .size:           4
        .value_kind:     by_value
      - .address_space:  global
        .offset:         8
        .size:           8
        .value_kind:     global_buffer
      - .offset:         16
        .size:           8
        .value_kind:     by_value
      - .offset:         24
        .size:           8
        .value_kind:     by_value
      - .offset:         32
        .size:           8
        .value_kind:     by_value
      - .address_space:  global
        .offset:         40
        .size:           8
        .value_kind:     global_buffer
      - .offset:         48
        .size:           8
        .value_kind:     by_value
      - .offset:         56
        .size:           8
        .value_kind:     by_value
      - .offset:         64
        .size:           8
        .value_kind:     by_value
      - .offset:         72
        .size:           2
        .value_kind:     by_value
      - .offset:         80
        .size:           8
        .value_kind:     by_value
      - .offset:         88
        .size:           2
        .value_kind:     by_value
      - .offset:         96
        .size:           8
        .value_kind:     by_value
      - .offset:         104
        .size:           4
        .value_kind:     by_value
      - .offset:         112
        .size:           4
        .value_kind:     hidden_block_count_x
      - .offset:         116
        .size:           4
        .value_kind:     hidden_block_count_y
      - .offset:         120
        .size:           4
        .value_kind:     hidden_block_count_z
      - .offset:         124
        .size:           2
        .value_kind:     hidden_group_size_x
      - .offset:         126
        .size:           2
        .value_kind:     hidden_group_size_y
      - .offset:         128
        .size:           2
        .value_kind:     hidden_group_size_z
      - .offset:         130
        .size:           2
        .value_kind:     hidden_remainder_x
      - .offset:         132
        .size:           2
        .value_kind:     hidden_remainder_y
      - .offset:         134
        .size:           2
        .value_kind:     hidden_remainder_z
      - .offset:         152
        .size:           8
        .value_kind:     hidden_global_offset_x
      - .offset:         160
        .size:           8
        .value_kind:     hidden_global_offset_y
      - .offset:         168
        .size:           8
        .value_kind:     hidden_global_offset_z
      - .offset:         176
        .size:           2
        .value_kind:     hidden_grid_dims
    .group_segment_fixed_size: 0
    .kernarg_segment_align: 8
    .kernarg_segment_size: 368
    .language:       OpenCL C
    .language_version:
      - 2
      - 0
    .max_flat_workgroup_size: 512
    .name:           _ZL18rocblas_rot_kernelIiLi512EfP16rocblas_bfloat16S1_S0_S0_EviT2_lllT3_lllT4_lT5_li
    .private_segment_fixed_size: 0
    .sgpr_count:     34
    .sgpr_spill_count: 0
    .symbol:         _ZL18rocblas_rot_kernelIiLi512EfP16rocblas_bfloat16S1_S0_S0_EviT2_lllT3_lllT4_lT5_li.kd
    .uniform_work_group_size: 1
    .uses_dynamic_stack: false
    .vgpr_count:     10
    .vgpr_spill_count: 0
    .wavefront_size: 32
    .workgroup_processor_mode: 1
  - .args:
      - .offset:         0
        .size:           4
        .value_kind:     by_value
      - .address_space:  global
        .offset:         8
        .size:           8
        .value_kind:     global_buffer
      - .offset:         16
        .size:           8
        .value_kind:     by_value
      - .offset:         24
        .size:           8
        .value_kind:     by_value
      - .offset:         32
        .size:           8
        .value_kind:     by_value
      - .address_space:  global
        .offset:         40
        .size:           8
        .value_kind:     global_buffer
      - .offset:         48
        .size:           8
        .value_kind:     by_value
      - .offset:         56
        .size:           8
        .value_kind:     by_value
      - .offset:         64
        .size:           8
        .value_kind:     by_value
      - .address_space:  global
        .offset:         72
        .size:           8
        .value_kind:     global_buffer
      - .offset:         80
        .size:           8
        .value_kind:     by_value
      - .address_space:  global
        .offset:         88
        .size:           8
        .value_kind:     global_buffer
      - .offset:         96
        .size:           8
        .value_kind:     by_value
      - .offset:         104
        .size:           4
        .value_kind:     by_value
      - .offset:         112
        .size:           4
        .value_kind:     hidden_block_count_x
      - .offset:         116
        .size:           4
        .value_kind:     hidden_block_count_y
      - .offset:         120
        .size:           4
        .value_kind:     hidden_block_count_z
      - .offset:         124
        .size:           2
        .value_kind:     hidden_group_size_x
      - .offset:         126
        .size:           2
        .value_kind:     hidden_group_size_y
      - .offset:         128
        .size:           2
        .value_kind:     hidden_group_size_z
      - .offset:         130
        .size:           2
        .value_kind:     hidden_remainder_x
      - .offset:         132
        .size:           2
        .value_kind:     hidden_remainder_y
      - .offset:         134
        .size:           2
        .value_kind:     hidden_remainder_z
      - .offset:         152
        .size:           8
        .value_kind:     hidden_global_offset_x
      - .offset:         160
        .size:           8
        .value_kind:     hidden_global_offset_y
      - .offset:         168
        .size:           8
        .value_kind:     hidden_global_offset_z
      - .offset:         176
        .size:           2
        .value_kind:     hidden_grid_dims
    .group_segment_fixed_size: 0
    .kernarg_segment_align: 8
    .kernarg_segment_size: 368
    .language:       OpenCL C
    .language_version:
      - 2
      - 0
    .max_flat_workgroup_size: 512
    .name:           _ZL18rocblas_rot_kernelIiLi512EfPDF16_S0_PKDF16_S2_EviT2_lllT3_lllT4_lT5_li
    .private_segment_fixed_size: 0
    .sgpr_count:     34
    .sgpr_spill_count: 0
    .symbol:         _ZL18rocblas_rot_kernelIiLi512EfPDF16_S0_PKDF16_S2_EviT2_lllT3_lllT4_lT5_li.kd
    .uniform_work_group_size: 1
    .uses_dynamic_stack: false
    .vgpr_count:     9
    .vgpr_spill_count: 0
    .wavefront_size: 32
    .workgroup_processor_mode: 1
  - .args:
      - .offset:         0
        .size:           4
        .value_kind:     by_value
      - .address_space:  global
        .offset:         8
        .size:           8
        .value_kind:     global_buffer
      - .offset:         16
        .size:           8
        .value_kind:     by_value
      - .offset:         24
        .size:           8
        .value_kind:     by_value
      - .offset:         32
        .size:           8
        .value_kind:     by_value
      - .address_space:  global
        .offset:         40
        .size:           8
        .value_kind:     global_buffer
      - .offset:         48
        .size:           8
        .value_kind:     by_value
      - .offset:         56
        .size:           8
        .value_kind:     by_value
      - .offset:         64
        .size:           8
        .value_kind:     by_value
      - .offset:         72
        .size:           2
        .value_kind:     by_value
      - .offset:         80
        .size:           8
        .value_kind:     by_value
      - .offset:         88
        .size:           2
        .value_kind:     by_value
      - .offset:         96
        .size:           8
        .value_kind:     by_value
      - .offset:         104
        .size:           4
        .value_kind:     by_value
      - .offset:         112
        .size:           4
        .value_kind:     hidden_block_count_x
      - .offset:         116
        .size:           4
        .value_kind:     hidden_block_count_y
      - .offset:         120
        .size:           4
        .value_kind:     hidden_block_count_z
      - .offset:         124
        .size:           2
        .value_kind:     hidden_group_size_x
      - .offset:         126
        .size:           2
        .value_kind:     hidden_group_size_y
      - .offset:         128
        .size:           2
        .value_kind:     hidden_group_size_z
      - .offset:         130
        .size:           2
        .value_kind:     hidden_remainder_x
      - .offset:         132
        .size:           2
        .value_kind:     hidden_remainder_y
      - .offset:         134
        .size:           2
        .value_kind:     hidden_remainder_z
      - .offset:         152
        .size:           8
        .value_kind:     hidden_global_offset_x
      - .offset:         160
        .size:           8
        .value_kind:     hidden_global_offset_y
      - .offset:         168
        .size:           8
        .value_kind:     hidden_global_offset_z
      - .offset:         176
        .size:           2
        .value_kind:     hidden_grid_dims
    .group_segment_fixed_size: 0
    .kernarg_segment_align: 8
    .kernarg_segment_size: 368
    .language:       OpenCL C
    .language_version:
      - 2
      - 0
    .max_flat_workgroup_size: 512
    .name:           _ZL18rocblas_rot_kernelIiLi512EfPDF16_S0_DF16_DF16_EviT2_lllT3_lllT4_lT5_li
    .private_segment_fixed_size: 0
    .sgpr_count:     34
    .sgpr_spill_count: 0
    .symbol:         _ZL18rocblas_rot_kernelIiLi512EfPDF16_S0_DF16_DF16_EviT2_lllT3_lllT4_lT5_li.kd
    .uniform_work_group_size: 1
    .uses_dynamic_stack: false
    .vgpr_count:     8
    .vgpr_spill_count: 0
    .wavefront_size: 32
    .workgroup_processor_mode: 1
  - .args:
      - .offset:         0
        .size:           4
        .value_kind:     by_value
      - .address_space:  global
        .offset:         8
        .size:           8
        .value_kind:     global_buffer
      - .offset:         16
        .size:           8
        .value_kind:     by_value
      - .offset:         24
        .size:           8
        .value_kind:     by_value
      - .offset:         32
        .size:           8
        .value_kind:     by_value
      - .address_space:  global
        .offset:         40
        .size:           8
        .value_kind:     global_buffer
      - .offset:         48
        .size:           8
        .value_kind:     by_value
      - .offset:         56
        .size:           8
        .value_kind:     by_value
      - .offset:         64
        .size:           8
        .value_kind:     by_value
      - .address_space:  global
        .offset:         72
        .size:           8
        .value_kind:     global_buffer
      - .offset:         80
        .size:           8
        .value_kind:     by_value
      - .address_space:  global
        .offset:         88
        .size:           8
        .value_kind:     global_buffer
      - .offset:         96
        .size:           8
        .value_kind:     by_value
      - .offset:         104
        .size:           4
        .value_kind:     by_value
      - .offset:         112
        .size:           4
        .value_kind:     hidden_block_count_x
      - .offset:         116
        .size:           4
        .value_kind:     hidden_block_count_y
      - .offset:         120
        .size:           4
        .value_kind:     hidden_block_count_z
      - .offset:         124
        .size:           2
        .value_kind:     hidden_group_size_x
      - .offset:         126
        .size:           2
        .value_kind:     hidden_group_size_y
      - .offset:         128
        .size:           2
        .value_kind:     hidden_group_size_z
      - .offset:         130
        .size:           2
        .value_kind:     hidden_remainder_x
      - .offset:         132
        .size:           2
        .value_kind:     hidden_remainder_y
      - .offset:         134
        .size:           2
        .value_kind:     hidden_remainder_z
      - .offset:         152
        .size:           8
        .value_kind:     hidden_global_offset_x
      - .offset:         160
        .size:           8
        .value_kind:     hidden_global_offset_y
      - .offset:         168
        .size:           8
        .value_kind:     hidden_global_offset_z
      - .offset:         176
        .size:           2
        .value_kind:     hidden_grid_dims
    .group_segment_fixed_size: 0
    .kernarg_segment_align: 8
    .kernarg_segment_size: 368
    .language:       OpenCL C
    .language_version:
      - 2
      - 0
    .max_flat_workgroup_size: 512
    .name:           _ZL18rocblas_rot_kernelIiLi512E19rocblas_complex_numIfEPS1_S2_PKfS4_EviT2_lllT3_lllT4_lT5_li
    .private_segment_fixed_size: 0
    .sgpr_count:     34
    .sgpr_spill_count: 0
    .symbol:         _ZL18rocblas_rot_kernelIiLi512E19rocblas_complex_numIfEPS1_S2_PKfS4_EviT2_lllT3_lllT4_lT5_li.kd
    .uniform_work_group_size: 1
    .uses_dynamic_stack: false
    .vgpr_count:     12
    .vgpr_spill_count: 0
    .wavefront_size: 32
    .workgroup_processor_mode: 1
  - .args:
      - .offset:         0
        .size:           4
        .value_kind:     by_value
      - .address_space:  global
        .offset:         8
        .size:           8
        .value_kind:     global_buffer
      - .offset:         16
        .size:           8
        .value_kind:     by_value
      - .offset:         24
        .size:           8
        .value_kind:     by_value
      - .offset:         32
        .size:           8
        .value_kind:     by_value
      - .address_space:  global
        .offset:         40
        .size:           8
        .value_kind:     global_buffer
      - .offset:         48
        .size:           8
        .value_kind:     by_value
      - .offset:         56
        .size:           8
        .value_kind:     by_value
      - .offset:         64
        .size:           8
        .value_kind:     by_value
      - .offset:         72
        .size:           4
        .value_kind:     by_value
      - .offset:         80
        .size:           8
        .value_kind:     by_value
      - .offset:         88
        .size:           4
        .value_kind:     by_value
      - .offset:         96
        .size:           8
        .value_kind:     by_value
      - .offset:         104
        .size:           4
        .value_kind:     by_value
      - .offset:         112
        .size:           4
        .value_kind:     hidden_block_count_x
      - .offset:         116
        .size:           4
        .value_kind:     hidden_block_count_y
      - .offset:         120
        .size:           4
        .value_kind:     hidden_block_count_z
      - .offset:         124
        .size:           2
        .value_kind:     hidden_group_size_x
      - .offset:         126
        .size:           2
        .value_kind:     hidden_group_size_y
      - .offset:         128
        .size:           2
        .value_kind:     hidden_group_size_z
      - .offset:         130
        .size:           2
        .value_kind:     hidden_remainder_x
      - .offset:         132
        .size:           2
        .value_kind:     hidden_remainder_y
      - .offset:         134
        .size:           2
        .value_kind:     hidden_remainder_z
      - .offset:         152
        .size:           8
        .value_kind:     hidden_global_offset_x
      - .offset:         160
        .size:           8
        .value_kind:     hidden_global_offset_y
      - .offset:         168
        .size:           8
        .value_kind:     hidden_global_offset_z
      - .offset:         176
        .size:           2
        .value_kind:     hidden_grid_dims
    .group_segment_fixed_size: 0
    .kernarg_segment_align: 8
    .kernarg_segment_size: 368
    .language:       OpenCL C
    .language_version:
      - 2
      - 0
    .max_flat_workgroup_size: 512
    .name:           _ZL18rocblas_rot_kernelIiLi512E19rocblas_complex_numIfEPS1_S2_ffEviT2_lllT3_lllT4_lT5_li
    .private_segment_fixed_size: 0
    .sgpr_count:     34
    .sgpr_spill_count: 0
    .symbol:         _ZL18rocblas_rot_kernelIiLi512E19rocblas_complex_numIfEPS1_S2_ffEviT2_lllT3_lllT4_lT5_li.kd
    .uniform_work_group_size: 1
    .uses_dynamic_stack: false
    .vgpr_count:     12
    .vgpr_spill_count: 0
    .wavefront_size: 32
    .workgroup_processor_mode: 1
  - .args:
      - .offset:         0
        .size:           4
        .value_kind:     by_value
      - .address_space:  global
        .offset:         8
        .size:           8
        .value_kind:     global_buffer
      - .offset:         16
        .size:           8
        .value_kind:     by_value
      - .offset:         24
        .size:           8
        .value_kind:     by_value
      - .offset:         32
        .size:           8
        .value_kind:     by_value
      - .address_space:  global
        .offset:         40
        .size:           8
        .value_kind:     global_buffer
      - .offset:         48
        .size:           8
        .value_kind:     by_value
      - .offset:         56
        .size:           8
        .value_kind:     by_value
      - .offset:         64
        .size:           8
        .value_kind:     by_value
      - .address_space:  global
        .offset:         72
        .size:           8
        .value_kind:     global_buffer
      - .offset:         80
        .size:           8
        .value_kind:     by_value
      - .address_space:  global
        .offset:         88
        .size:           8
        .value_kind:     global_buffer
      - .offset:         96
        .size:           8
        .value_kind:     by_value
      - .offset:         104
        .size:           4
        .value_kind:     by_value
      - .offset:         112
        .size:           4
        .value_kind:     hidden_block_count_x
      - .offset:         116
        .size:           4
        .value_kind:     hidden_block_count_y
      - .offset:         120
        .size:           4
        .value_kind:     hidden_block_count_z
      - .offset:         124
        .size:           2
        .value_kind:     hidden_group_size_x
      - .offset:         126
        .size:           2
        .value_kind:     hidden_group_size_y
      - .offset:         128
        .size:           2
        .value_kind:     hidden_group_size_z
      - .offset:         130
        .size:           2
        .value_kind:     hidden_remainder_x
      - .offset:         132
        .size:           2
        .value_kind:     hidden_remainder_y
      - .offset:         134
        .size:           2
        .value_kind:     hidden_remainder_z
      - .offset:         152
        .size:           8
        .value_kind:     hidden_global_offset_x
      - .offset:         160
        .size:           8
        .value_kind:     hidden_global_offset_y
      - .offset:         168
        .size:           8
        .value_kind:     hidden_global_offset_z
      - .offset:         176
        .size:           2
        .value_kind:     hidden_grid_dims
    .group_segment_fixed_size: 0
    .kernarg_segment_align: 8
    .kernarg_segment_size: 368
    .language:       OpenCL C
    .language_version:
      - 2
      - 0
    .max_flat_workgroup_size: 512
    .name:           _ZL18rocblas_rot_kernelIiLi512E19rocblas_complex_numIfEPS1_S2_PKfPKS1_EviT2_lllT3_lllT4_lT5_li
    .private_segment_fixed_size: 0
    .sgpr_count:     34
    .sgpr_spill_count: 0
    .symbol:         _ZL18rocblas_rot_kernelIiLi512E19rocblas_complex_numIfEPS1_S2_PKfPKS1_EviT2_lllT3_lllT4_lT5_li.kd
    .uniform_work_group_size: 1
    .uses_dynamic_stack: false
    .vgpr_count:     12
    .vgpr_spill_count: 0
    .wavefront_size: 32
    .workgroup_processor_mode: 1
  - .args:
      - .offset:         0
        .size:           4
        .value_kind:     by_value
      - .address_space:  global
        .offset:         8
        .size:           8
        .value_kind:     global_buffer
      - .offset:         16
        .size:           8
        .value_kind:     by_value
      - .offset:         24
        .size:           8
        .value_kind:     by_value
      - .offset:         32
        .size:           8
        .value_kind:     by_value
      - .address_space:  global
        .offset:         40
        .size:           8
        .value_kind:     global_buffer
      - .offset:         48
        .size:           8
        .value_kind:     by_value
      - .offset:         56
        .size:           8
        .value_kind:     by_value
      - .offset:         64
        .size:           8
        .value_kind:     by_value
      - .offset:         72
        .size:           4
        .value_kind:     by_value
      - .offset:         80
        .size:           8
        .value_kind:     by_value
      - .offset:         88
        .size:           8
        .value_kind:     by_value
      - .offset:         96
        .size:           8
        .value_kind:     by_value
      - .offset:         104
        .size:           4
        .value_kind:     by_value
      - .offset:         112
        .size:           4
        .value_kind:     hidden_block_count_x
      - .offset:         116
        .size:           4
        .value_kind:     hidden_block_count_y
      - .offset:         120
        .size:           4
        .value_kind:     hidden_block_count_z
      - .offset:         124
        .size:           2
        .value_kind:     hidden_group_size_x
      - .offset:         126
        .size:           2
        .value_kind:     hidden_group_size_y
      - .offset:         128
        .size:           2
        .value_kind:     hidden_group_size_z
      - .offset:         130
        .size:           2
        .value_kind:     hidden_remainder_x
      - .offset:         132
        .size:           2
        .value_kind:     hidden_remainder_y
      - .offset:         134
        .size:           2
        .value_kind:     hidden_remainder_z
      - .offset:         152
        .size:           8
        .value_kind:     hidden_global_offset_x
      - .offset:         160
        .size:           8
        .value_kind:     hidden_global_offset_y
      - .offset:         168
        .size:           8
        .value_kind:     hidden_global_offset_z
      - .offset:         176
        .size:           2
        .value_kind:     hidden_grid_dims
    .group_segment_fixed_size: 0
    .kernarg_segment_align: 8
    .kernarg_segment_size: 368
    .language:       OpenCL C
    .language_version:
      - 2
      - 0
    .max_flat_workgroup_size: 512
    .name:           _ZL18rocblas_rot_kernelIiLi512E19rocblas_complex_numIfEPS1_S2_fS1_EviT2_lllT3_lllT4_lT5_li
    .private_segment_fixed_size: 0
    .sgpr_count:     34
    .sgpr_spill_count: 0
    .symbol:         _ZL18rocblas_rot_kernelIiLi512E19rocblas_complex_numIfEPS1_S2_fS1_EviT2_lllT3_lllT4_lT5_li.kd
    .uniform_work_group_size: 1
    .uses_dynamic_stack: false
    .vgpr_count:     12
    .vgpr_spill_count: 0
    .wavefront_size: 32
    .workgroup_processor_mode: 1
  - .args:
      - .offset:         0
        .size:           4
        .value_kind:     by_value
      - .address_space:  global
        .offset:         8
        .size:           8
        .value_kind:     global_buffer
      - .offset:         16
        .size:           8
        .value_kind:     by_value
      - .offset:         24
        .size:           8
        .value_kind:     by_value
      - .offset:         32
        .size:           8
        .value_kind:     by_value
      - .address_space:  global
        .offset:         40
        .size:           8
        .value_kind:     global_buffer
      - .offset:         48
        .size:           8
        .value_kind:     by_value
      - .offset:         56
        .size:           8
        .value_kind:     by_value
      - .offset:         64
        .size:           8
        .value_kind:     by_value
      - .address_space:  global
        .offset:         72
        .size:           8
        .value_kind:     global_buffer
      - .offset:         80
        .size:           8
        .value_kind:     by_value
      - .address_space:  global
        .offset:         88
        .size:           8
        .value_kind:     global_buffer
      - .offset:         96
        .size:           8
        .value_kind:     by_value
      - .offset:         104
        .size:           4
        .value_kind:     by_value
      - .offset:         112
        .size:           4
        .value_kind:     hidden_block_count_x
      - .offset:         116
        .size:           4
        .value_kind:     hidden_block_count_y
      - .offset:         120
        .size:           4
        .value_kind:     hidden_block_count_z
      - .offset:         124
        .size:           2
        .value_kind:     hidden_group_size_x
      - .offset:         126
        .size:           2
        .value_kind:     hidden_group_size_y
      - .offset:         128
        .size:           2
        .value_kind:     hidden_group_size_z
      - .offset:         130
        .size:           2
        .value_kind:     hidden_remainder_x
      - .offset:         132
        .size:           2
        .value_kind:     hidden_remainder_y
      - .offset:         134
        .size:           2
        .value_kind:     hidden_remainder_z
      - .offset:         152
        .size:           8
        .value_kind:     hidden_global_offset_x
      - .offset:         160
        .size:           8
        .value_kind:     hidden_global_offset_y
      - .offset:         168
        .size:           8
        .value_kind:     hidden_global_offset_z
      - .offset:         176
        .size:           2
        .value_kind:     hidden_grid_dims
    .group_segment_fixed_size: 0
    .kernarg_segment_align: 8
    .kernarg_segment_size: 368
    .language:       OpenCL C
    .language_version:
      - 2
      - 0
    .max_flat_workgroup_size: 512
    .name:           _ZL18rocblas_rot_kernelIiLi512E19rocblas_complex_numIfEPS1_S2_PKS1_S4_EviT2_lllT3_lllT4_lT5_li
    .private_segment_fixed_size: 0
    .sgpr_count:     34
    .sgpr_spill_count: 0
    .symbol:         _ZL18rocblas_rot_kernelIiLi512E19rocblas_complex_numIfEPS1_S2_PKS1_S4_EviT2_lllT3_lllT4_lT5_li.kd
    .uniform_work_group_size: 1
    .uses_dynamic_stack: false
    .vgpr_count:     12
    .vgpr_spill_count: 0
    .wavefront_size: 32
    .workgroup_processor_mode: 1
  - .args:
      - .offset:         0
        .size:           4
        .value_kind:     by_value
      - .address_space:  global
        .offset:         8
        .size:           8
        .value_kind:     global_buffer
      - .offset:         16
        .size:           8
        .value_kind:     by_value
      - .offset:         24
        .size:           8
        .value_kind:     by_value
      - .offset:         32
        .size:           8
        .value_kind:     by_value
      - .address_space:  global
        .offset:         40
        .size:           8
        .value_kind:     global_buffer
      - .offset:         48
        .size:           8
        .value_kind:     by_value
      - .offset:         56
        .size:           8
        .value_kind:     by_value
      - .offset:         64
        .size:           8
        .value_kind:     by_value
      - .offset:         72
        .size:           8
        .value_kind:     by_value
      - .offset:         80
        .size:           8
        .value_kind:     by_value
      - .offset:         88
        .size:           8
        .value_kind:     by_value
      - .offset:         96
        .size:           8
        .value_kind:     by_value
      - .offset:         104
        .size:           4
        .value_kind:     by_value
      - .offset:         112
        .size:           4
        .value_kind:     hidden_block_count_x
      - .offset:         116
        .size:           4
        .value_kind:     hidden_block_count_y
      - .offset:         120
        .size:           4
        .value_kind:     hidden_block_count_z
      - .offset:         124
        .size:           2
        .value_kind:     hidden_group_size_x
      - .offset:         126
        .size:           2
        .value_kind:     hidden_group_size_y
      - .offset:         128
        .size:           2
        .value_kind:     hidden_group_size_z
      - .offset:         130
        .size:           2
        .value_kind:     hidden_remainder_x
      - .offset:         132
        .size:           2
        .value_kind:     hidden_remainder_y
      - .offset:         134
        .size:           2
        .value_kind:     hidden_remainder_z
      - .offset:         152
        .size:           8
        .value_kind:     hidden_global_offset_x
      - .offset:         160
        .size:           8
        .value_kind:     hidden_global_offset_y
      - .offset:         168
        .size:           8
        .value_kind:     hidden_global_offset_z
      - .offset:         176
        .size:           2
        .value_kind:     hidden_grid_dims
    .group_segment_fixed_size: 0
    .kernarg_segment_align: 8
    .kernarg_segment_size: 368
    .language:       OpenCL C
    .language_version:
      - 2
      - 0
    .max_flat_workgroup_size: 512
    .name:           _ZL18rocblas_rot_kernelIiLi512E19rocblas_complex_numIfEPS1_S2_S1_S1_EviT2_lllT3_lllT4_lT5_li
    .private_segment_fixed_size: 0
    .sgpr_count:     34
    .sgpr_spill_count: 0
    .symbol:         _ZL18rocblas_rot_kernelIiLi512E19rocblas_complex_numIfEPS1_S2_S1_S1_EviT2_lllT3_lllT4_lT5_li.kd
    .uniform_work_group_size: 1
    .uses_dynamic_stack: false
    .vgpr_count:     12
    .vgpr_spill_count: 0
    .wavefront_size: 32
    .workgroup_processor_mode: 1
  - .args:
      - .offset:         0
        .size:           4
        .value_kind:     by_value
      - .address_space:  global
        .offset:         8
        .size:           8
        .value_kind:     global_buffer
      - .offset:         16
        .size:           8
        .value_kind:     by_value
      - .offset:         24
        .size:           8
        .value_kind:     by_value
      - .offset:         32
        .size:           8
        .value_kind:     by_value
      - .address_space:  global
        .offset:         40
        .size:           8
        .value_kind:     global_buffer
      - .offset:         48
        .size:           8
        .value_kind:     by_value
      - .offset:         56
        .size:           8
        .value_kind:     by_value
      - .offset:         64
        .size:           8
        .value_kind:     by_value
      - .address_space:  global
        .offset:         72
        .size:           8
        .value_kind:     global_buffer
      - .offset:         80
        .size:           8
        .value_kind:     by_value
      - .address_space:  global
        .offset:         88
        .size:           8
        .value_kind:     global_buffer
      - .offset:         96
        .size:           8
        .value_kind:     by_value
      - .offset:         104
        .size:           4
        .value_kind:     by_value
      - .offset:         112
        .size:           4
        .value_kind:     hidden_block_count_x
      - .offset:         116
        .size:           4
        .value_kind:     hidden_block_count_y
      - .offset:         120
        .size:           4
        .value_kind:     hidden_block_count_z
      - .offset:         124
        .size:           2
        .value_kind:     hidden_group_size_x
      - .offset:         126
        .size:           2
        .value_kind:     hidden_group_size_y
      - .offset:         128
        .size:           2
        .value_kind:     hidden_group_size_z
      - .offset:         130
        .size:           2
        .value_kind:     hidden_remainder_x
      - .offset:         132
        .size:           2
        .value_kind:     hidden_remainder_y
      - .offset:         134
        .size:           2
        .value_kind:     hidden_remainder_z
      - .offset:         152
        .size:           8
        .value_kind:     hidden_global_offset_x
      - .offset:         160
        .size:           8
        .value_kind:     hidden_global_offset_y
      - .offset:         168
        .size:           8
        .value_kind:     hidden_global_offset_z
      - .offset:         176
        .size:           2
        .value_kind:     hidden_grid_dims
    .group_segment_fixed_size: 0
    .kernarg_segment_align: 8
    .kernarg_segment_size: 368
    .language:       OpenCL C
    .language_version:
      - 2
      - 0
    .max_flat_workgroup_size: 512
    .name:           _ZL18rocblas_rot_kernelIiLi512E19rocblas_complex_numIdEPS1_S2_PKdS4_EviT2_lllT3_lllT4_lT5_li
    .private_segment_fixed_size: 0
    .sgpr_count:     34
    .sgpr_spill_count: 0
    .symbol:         _ZL18rocblas_rot_kernelIiLi512E19rocblas_complex_numIdEPS1_S2_PKdS4_EviT2_lllT3_lllT4_lT5_li.kd
    .uniform_work_group_size: 1
    .uses_dynamic_stack: false
    .vgpr_count:     20
    .vgpr_spill_count: 0
    .wavefront_size: 32
    .workgroup_processor_mode: 1
  - .args:
      - .offset:         0
        .size:           4
        .value_kind:     by_value
      - .address_space:  global
        .offset:         8
        .size:           8
        .value_kind:     global_buffer
      - .offset:         16
        .size:           8
        .value_kind:     by_value
      - .offset:         24
        .size:           8
        .value_kind:     by_value
      - .offset:         32
        .size:           8
        .value_kind:     by_value
      - .address_space:  global
        .offset:         40
        .size:           8
        .value_kind:     global_buffer
      - .offset:         48
        .size:           8
        .value_kind:     by_value
      - .offset:         56
        .size:           8
        .value_kind:     by_value
      - .offset:         64
        .size:           8
        .value_kind:     by_value
      - .offset:         72
        .size:           8
        .value_kind:     by_value
      - .offset:         80
        .size:           8
        .value_kind:     by_value
      - .offset:         88
        .size:           8
        .value_kind:     by_value
      - .offset:         96
        .size:           8
        .value_kind:     by_value
      - .offset:         104
        .size:           4
        .value_kind:     by_value
      - .offset:         112
        .size:           4
        .value_kind:     hidden_block_count_x
      - .offset:         116
        .size:           4
        .value_kind:     hidden_block_count_y
      - .offset:         120
        .size:           4
        .value_kind:     hidden_block_count_z
      - .offset:         124
        .size:           2
        .value_kind:     hidden_group_size_x
      - .offset:         126
        .size:           2
        .value_kind:     hidden_group_size_y
      - .offset:         128
        .size:           2
        .value_kind:     hidden_group_size_z
      - .offset:         130
        .size:           2
        .value_kind:     hidden_remainder_x
      - .offset:         132
        .size:           2
        .value_kind:     hidden_remainder_y
      - .offset:         134
        .size:           2
        .value_kind:     hidden_remainder_z
      - .offset:         152
        .size:           8
        .value_kind:     hidden_global_offset_x
      - .offset:         160
        .size:           8
        .value_kind:     hidden_global_offset_y
      - .offset:         168
        .size:           8
        .value_kind:     hidden_global_offset_z
      - .offset:         176
        .size:           2
        .value_kind:     hidden_grid_dims
    .group_segment_fixed_size: 0
    .kernarg_segment_align: 8
    .kernarg_segment_size: 368
    .language:       OpenCL C
    .language_version:
      - 2
      - 0
    .max_flat_workgroup_size: 512
    .name:           _ZL18rocblas_rot_kernelIiLi512E19rocblas_complex_numIdEPS1_S2_ddEviT2_lllT3_lllT4_lT5_li
    .private_segment_fixed_size: 0
    .sgpr_count:     34
    .sgpr_spill_count: 0
    .symbol:         _ZL18rocblas_rot_kernelIiLi512E19rocblas_complex_numIdEPS1_S2_ddEviT2_lllT3_lllT4_lT5_li.kd
    .uniform_work_group_size: 1
    .uses_dynamic_stack: false
    .vgpr_count:     20
    .vgpr_spill_count: 0
    .wavefront_size: 32
    .workgroup_processor_mode: 1
  - .args:
      - .offset:         0
        .size:           4
        .value_kind:     by_value
      - .address_space:  global
        .offset:         8
        .size:           8
        .value_kind:     global_buffer
      - .offset:         16
        .size:           8
        .value_kind:     by_value
      - .offset:         24
        .size:           8
        .value_kind:     by_value
      - .offset:         32
        .size:           8
        .value_kind:     by_value
      - .address_space:  global
        .offset:         40
        .size:           8
        .value_kind:     global_buffer
      - .offset:         48
        .size:           8
        .value_kind:     by_value
      - .offset:         56
        .size:           8
        .value_kind:     by_value
      - .offset:         64
        .size:           8
        .value_kind:     by_value
      - .address_space:  global
        .offset:         72
        .size:           8
        .value_kind:     global_buffer
      - .offset:         80
        .size:           8
        .value_kind:     by_value
      - .address_space:  global
        .offset:         88
        .size:           8
        .value_kind:     global_buffer
      - .offset:         96
        .size:           8
        .value_kind:     by_value
      - .offset:         104
        .size:           4
        .value_kind:     by_value
      - .offset:         112
        .size:           4
        .value_kind:     hidden_block_count_x
      - .offset:         116
        .size:           4
        .value_kind:     hidden_block_count_y
      - .offset:         120
        .size:           4
        .value_kind:     hidden_block_count_z
      - .offset:         124
        .size:           2
        .value_kind:     hidden_group_size_x
      - .offset:         126
        .size:           2
        .value_kind:     hidden_group_size_y
      - .offset:         128
        .size:           2
        .value_kind:     hidden_group_size_z
      - .offset:         130
        .size:           2
        .value_kind:     hidden_remainder_x
      - .offset:         132
        .size:           2
        .value_kind:     hidden_remainder_y
      - .offset:         134
        .size:           2
        .value_kind:     hidden_remainder_z
      - .offset:         152
        .size:           8
        .value_kind:     hidden_global_offset_x
      - .offset:         160
        .size:           8
        .value_kind:     hidden_global_offset_y
      - .offset:         168
        .size:           8
        .value_kind:     hidden_global_offset_z
      - .offset:         176
        .size:           2
        .value_kind:     hidden_grid_dims
    .group_segment_fixed_size: 0
    .kernarg_segment_align: 8
    .kernarg_segment_size: 368
    .language:       OpenCL C
    .language_version:
      - 2
      - 0
    .max_flat_workgroup_size: 512
    .name:           _ZL18rocblas_rot_kernelIiLi512E19rocblas_complex_numIdEPS1_S2_PKdPKS1_EviT2_lllT3_lllT4_lT5_li
    .private_segment_fixed_size: 0
    .sgpr_count:     34
    .sgpr_spill_count: 0
    .symbol:         _ZL18rocblas_rot_kernelIiLi512E19rocblas_complex_numIdEPS1_S2_PKdPKS1_EviT2_lllT3_lllT4_lT5_li.kd
    .uniform_work_group_size: 1
    .uses_dynamic_stack: false
    .vgpr_count:     20
    .vgpr_spill_count: 0
    .wavefront_size: 32
    .workgroup_processor_mode: 1
  - .args:
      - .offset:         0
        .size:           4
        .value_kind:     by_value
      - .address_space:  global
        .offset:         8
        .size:           8
        .value_kind:     global_buffer
      - .offset:         16
        .size:           8
        .value_kind:     by_value
      - .offset:         24
        .size:           8
        .value_kind:     by_value
      - .offset:         32
        .size:           8
        .value_kind:     by_value
      - .address_space:  global
        .offset:         40
        .size:           8
        .value_kind:     global_buffer
      - .offset:         48
        .size:           8
        .value_kind:     by_value
      - .offset:         56
        .size:           8
        .value_kind:     by_value
      - .offset:         64
        .size:           8
        .value_kind:     by_value
      - .offset:         72
        .size:           8
        .value_kind:     by_value
      - .offset:         80
        .size:           8
        .value_kind:     by_value
      - .offset:         88
        .size:           16
        .value_kind:     by_value
      - .offset:         104
        .size:           8
        .value_kind:     by_value
      - .offset:         112
        .size:           4
        .value_kind:     by_value
      - .offset:         120
        .size:           4
        .value_kind:     hidden_block_count_x
      - .offset:         124
        .size:           4
        .value_kind:     hidden_block_count_y
      - .offset:         128
        .size:           4
        .value_kind:     hidden_block_count_z
      - .offset:         132
        .size:           2
        .value_kind:     hidden_group_size_x
      - .offset:         134
        .size:           2
        .value_kind:     hidden_group_size_y
      - .offset:         136
        .size:           2
        .value_kind:     hidden_group_size_z
      - .offset:         138
        .size:           2
        .value_kind:     hidden_remainder_x
      - .offset:         140
        .size:           2
        .value_kind:     hidden_remainder_y
      - .offset:         142
        .size:           2
        .value_kind:     hidden_remainder_z
      - .offset:         160
        .size:           8
        .value_kind:     hidden_global_offset_x
      - .offset:         168
        .size:           8
        .value_kind:     hidden_global_offset_y
      - .offset:         176
        .size:           8
        .value_kind:     hidden_global_offset_z
      - .offset:         184
        .size:           2
        .value_kind:     hidden_grid_dims
    .group_segment_fixed_size: 0
    .kernarg_segment_align: 8
    .kernarg_segment_size: 376
    .language:       OpenCL C
    .language_version:
      - 2
      - 0
    .max_flat_workgroup_size: 512
    .name:           _ZL18rocblas_rot_kernelIiLi512E19rocblas_complex_numIdEPS1_S2_dS1_EviT2_lllT3_lllT4_lT5_li
    .private_segment_fixed_size: 0
    .sgpr_count:     34
    .sgpr_spill_count: 0
    .symbol:         _ZL18rocblas_rot_kernelIiLi512E19rocblas_complex_numIdEPS1_S2_dS1_EviT2_lllT3_lllT4_lT5_li.kd
    .uniform_work_group_size: 1
    .uses_dynamic_stack: false
    .vgpr_count:     20
    .vgpr_spill_count: 0
    .wavefront_size: 32
    .workgroup_processor_mode: 1
  - .args:
      - .offset:         0
        .size:           4
        .value_kind:     by_value
      - .address_space:  global
        .offset:         8
        .size:           8
        .value_kind:     global_buffer
      - .offset:         16
        .size:           8
        .value_kind:     by_value
      - .offset:         24
        .size:           8
        .value_kind:     by_value
      - .offset:         32
        .size:           8
        .value_kind:     by_value
      - .address_space:  global
        .offset:         40
        .size:           8
        .value_kind:     global_buffer
      - .offset:         48
        .size:           8
        .value_kind:     by_value
      - .offset:         56
        .size:           8
        .value_kind:     by_value
      - .offset:         64
        .size:           8
        .value_kind:     by_value
      - .address_space:  global
        .offset:         72
        .size:           8
        .value_kind:     global_buffer
      - .offset:         80
        .size:           8
        .value_kind:     by_value
      - .address_space:  global
        .offset:         88
        .size:           8
        .value_kind:     global_buffer
      - .offset:         96
        .size:           8
        .value_kind:     by_value
      - .offset:         104
        .size:           4
        .value_kind:     by_value
      - .offset:         112
        .size:           4
        .value_kind:     hidden_block_count_x
      - .offset:         116
        .size:           4
        .value_kind:     hidden_block_count_y
      - .offset:         120
        .size:           4
        .value_kind:     hidden_block_count_z
      - .offset:         124
        .size:           2
        .value_kind:     hidden_group_size_x
      - .offset:         126
        .size:           2
        .value_kind:     hidden_group_size_y
      - .offset:         128
        .size:           2
        .value_kind:     hidden_group_size_z
      - .offset:         130
        .size:           2
        .value_kind:     hidden_remainder_x
      - .offset:         132
        .size:           2
        .value_kind:     hidden_remainder_y
      - .offset:         134
        .size:           2
        .value_kind:     hidden_remainder_z
      - .offset:         152
        .size:           8
        .value_kind:     hidden_global_offset_x
      - .offset:         160
        .size:           8
        .value_kind:     hidden_global_offset_y
      - .offset:         168
        .size:           8
        .value_kind:     hidden_global_offset_z
      - .offset:         176
        .size:           2
        .value_kind:     hidden_grid_dims
    .group_segment_fixed_size: 0
    .kernarg_segment_align: 8
    .kernarg_segment_size: 368
    .language:       OpenCL C
    .language_version:
      - 2
      - 0
    .max_flat_workgroup_size: 512
    .name:           _ZL18rocblas_rot_kernelIiLi512E19rocblas_complex_numIdEPS1_S2_PKS1_S4_EviT2_lllT3_lllT4_lT5_li
    .private_segment_fixed_size: 0
    .sgpr_count:     34
    .sgpr_spill_count: 0
    .symbol:         _ZL18rocblas_rot_kernelIiLi512E19rocblas_complex_numIdEPS1_S2_PKS1_S4_EviT2_lllT3_lllT4_lT5_li.kd
    .uniform_work_group_size: 1
    .uses_dynamic_stack: false
    .vgpr_count:     20
    .vgpr_spill_count: 0
    .wavefront_size: 32
    .workgroup_processor_mode: 1
  - .args:
      - .offset:         0
        .size:           4
        .value_kind:     by_value
      - .address_space:  global
        .offset:         8
        .size:           8
        .value_kind:     global_buffer
      - .offset:         16
        .size:           8
        .value_kind:     by_value
      - .offset:         24
        .size:           8
        .value_kind:     by_value
      - .offset:         32
        .size:           8
        .value_kind:     by_value
      - .address_space:  global
        .offset:         40
        .size:           8
        .value_kind:     global_buffer
      - .offset:         48
        .size:           8
        .value_kind:     by_value
      - .offset:         56
        .size:           8
        .value_kind:     by_value
      - .offset:         64
        .size:           8
        .value_kind:     by_value
      - .offset:         72
        .size:           16
        .value_kind:     by_value
      - .offset:         88
        .size:           8
        .value_kind:     by_value
      - .offset:         96
        .size:           16
        .value_kind:     by_value
      - .offset:         112
        .size:           8
        .value_kind:     by_value
      - .offset:         120
        .size:           4
        .value_kind:     by_value
      - .offset:         128
        .size:           4
        .value_kind:     hidden_block_count_x
      - .offset:         132
        .size:           4
        .value_kind:     hidden_block_count_y
      - .offset:         136
        .size:           4
        .value_kind:     hidden_block_count_z
      - .offset:         140
        .size:           2
        .value_kind:     hidden_group_size_x
      - .offset:         142
        .size:           2
        .value_kind:     hidden_group_size_y
      - .offset:         144
        .size:           2
        .value_kind:     hidden_group_size_z
      - .offset:         146
        .size:           2
        .value_kind:     hidden_remainder_x
      - .offset:         148
        .size:           2
        .value_kind:     hidden_remainder_y
      - .offset:         150
        .size:           2
        .value_kind:     hidden_remainder_z
      - .offset:         168
        .size:           8
        .value_kind:     hidden_global_offset_x
      - .offset:         176
        .size:           8
        .value_kind:     hidden_global_offset_y
      - .offset:         184
        .size:           8
        .value_kind:     hidden_global_offset_z
      - .offset:         192
        .size:           2
        .value_kind:     hidden_grid_dims
    .group_segment_fixed_size: 0
    .kernarg_segment_align: 8
    .kernarg_segment_size: 384
    .language:       OpenCL C
    .language_version:
      - 2
      - 0
    .max_flat_workgroup_size: 512
    .name:           _ZL18rocblas_rot_kernelIiLi512E19rocblas_complex_numIdEPS1_S2_S1_S1_EviT2_lllT3_lllT4_lT5_li
    .private_segment_fixed_size: 0
    .sgpr_count:     34
    .sgpr_spill_count: 0
    .symbol:         _ZL18rocblas_rot_kernelIiLi512E19rocblas_complex_numIdEPS1_S2_S1_S1_EviT2_lllT3_lllT4_lT5_li.kd
    .uniform_work_group_size: 1
    .uses_dynamic_stack: false
    .vgpr_count:     20
    .vgpr_spill_count: 0
    .wavefront_size: 32
    .workgroup_processor_mode: 1
  - .args:
      - .offset:         0
        .size:           4
        .value_kind:     by_value
      - .address_space:  global
        .offset:         8
        .size:           8
        .value_kind:     global_buffer
      - .offset:         16
        .size:           8
        .value_kind:     by_value
      - .offset:         24
        .size:           8
        .value_kind:     by_value
      - .offset:         32
        .size:           8
        .value_kind:     by_value
      - .address_space:  global
        .offset:         40
        .size:           8
        .value_kind:     global_buffer
      - .offset:         48
        .size:           8
        .value_kind:     by_value
      - .offset:         56
        .size:           8
        .value_kind:     by_value
      - .offset:         64
        .size:           8
        .value_kind:     by_value
      - .address_space:  global
        .offset:         72
        .size:           8
        .value_kind:     global_buffer
      - .offset:         80
        .size:           8
        .value_kind:     by_value
      - .address_space:  global
        .offset:         88
        .size:           8
        .value_kind:     global_buffer
      - .offset:         96
        .size:           8
        .value_kind:     by_value
      - .offset:         104
        .size:           4
        .value_kind:     by_value
      - .offset:         112
        .size:           4
        .value_kind:     hidden_block_count_x
      - .offset:         116
        .size:           4
        .value_kind:     hidden_block_count_y
      - .offset:         120
        .size:           4
        .value_kind:     hidden_block_count_z
      - .offset:         124
        .size:           2
        .value_kind:     hidden_group_size_x
      - .offset:         126
        .size:           2
        .value_kind:     hidden_group_size_y
      - .offset:         128
        .size:           2
        .value_kind:     hidden_group_size_z
      - .offset:         130
        .size:           2
        .value_kind:     hidden_remainder_x
      - .offset:         132
        .size:           2
        .value_kind:     hidden_remainder_y
      - .offset:         134
        .size:           2
        .value_kind:     hidden_remainder_z
      - .offset:         152
        .size:           8
        .value_kind:     hidden_global_offset_x
      - .offset:         160
        .size:           8
        .value_kind:     hidden_global_offset_y
      - .offset:         168
        .size:           8
        .value_kind:     hidden_global_offset_z
      - .offset:         176
        .size:           2
        .value_kind:     hidden_grid_dims
    .group_segment_fixed_size: 0
    .kernarg_segment_align: 8
    .kernarg_segment_size: 368
    .language:       OpenCL C
    .language_version:
      - 2
      - 0
    .max_flat_workgroup_size: 512
    .name:           _ZL18rocblas_rot_kernelIiLi512EfPKPfS2_PKfS4_EviT2_lllT3_lllT4_lT5_li
    .private_segment_fixed_size: 0
    .sgpr_count:     20
    .sgpr_spill_count: 0
    .symbol:         _ZL18rocblas_rot_kernelIiLi512EfPKPfS2_PKfS4_EviT2_lllT3_lllT4_lT5_li.kd
    .uniform_work_group_size: 1
    .uses_dynamic_stack: false
    .vgpr_count:     8
    .vgpr_spill_count: 0
    .wavefront_size: 32
    .workgroup_processor_mode: 1
  - .args:
      - .offset:         0
        .size:           4
        .value_kind:     by_value
      - .address_space:  global
        .offset:         8
        .size:           8
        .value_kind:     global_buffer
      - .offset:         16
        .size:           8
        .value_kind:     by_value
      - .offset:         24
        .size:           8
        .value_kind:     by_value
      - .offset:         32
        .size:           8
        .value_kind:     by_value
      - .address_space:  global
        .offset:         40
        .size:           8
        .value_kind:     global_buffer
      - .offset:         48
        .size:           8
        .value_kind:     by_value
      - .offset:         56
        .size:           8
        .value_kind:     by_value
      - .offset:         64
        .size:           8
        .value_kind:     by_value
      - .offset:         72
        .size:           4
        .value_kind:     by_value
      - .offset:         80
        .size:           8
        .value_kind:     by_value
      - .offset:         88
        .size:           4
        .value_kind:     by_value
      - .offset:         96
        .size:           8
        .value_kind:     by_value
      - .offset:         104
        .size:           4
        .value_kind:     by_value
      - .offset:         112
        .size:           4
        .value_kind:     hidden_block_count_x
      - .offset:         116
        .size:           4
        .value_kind:     hidden_block_count_y
      - .offset:         120
        .size:           4
        .value_kind:     hidden_block_count_z
      - .offset:         124
        .size:           2
        .value_kind:     hidden_group_size_x
      - .offset:         126
        .size:           2
        .value_kind:     hidden_group_size_y
      - .offset:         128
        .size:           2
        .value_kind:     hidden_group_size_z
      - .offset:         130
        .size:           2
        .value_kind:     hidden_remainder_x
      - .offset:         132
        .size:           2
        .value_kind:     hidden_remainder_y
      - .offset:         134
        .size:           2
        .value_kind:     hidden_remainder_z
      - .offset:         152
        .size:           8
        .value_kind:     hidden_global_offset_x
      - .offset:         160
        .size:           8
        .value_kind:     hidden_global_offset_y
      - .offset:         168
        .size:           8
        .value_kind:     hidden_global_offset_z
      - .offset:         176
        .size:           2
        .value_kind:     hidden_grid_dims
    .group_segment_fixed_size: 0
    .kernarg_segment_align: 8
    .kernarg_segment_size: 368
    .language:       OpenCL C
    .language_version:
      - 2
      - 0
    .max_flat_workgroup_size: 512
    .name:           _ZL18rocblas_rot_kernelIiLi512EfPKPfS2_ffEviT2_lllT3_lllT4_lT5_li
    .private_segment_fixed_size: 0
    .sgpr_count:     18
    .sgpr_spill_count: 0
    .symbol:         _ZL18rocblas_rot_kernelIiLi512EfPKPfS2_ffEviT2_lllT3_lllT4_lT5_li.kd
    .uniform_work_group_size: 1
    .uses_dynamic_stack: false
    .vgpr_count:     8
    .vgpr_spill_count: 0
    .wavefront_size: 32
    .workgroup_processor_mode: 1
  - .args:
      - .offset:         0
        .size:           4
        .value_kind:     by_value
      - .address_space:  global
        .offset:         8
        .size:           8
        .value_kind:     global_buffer
      - .offset:         16
        .size:           8
        .value_kind:     by_value
      - .offset:         24
        .size:           8
        .value_kind:     by_value
      - .offset:         32
        .size:           8
        .value_kind:     by_value
      - .address_space:  global
        .offset:         40
        .size:           8
        .value_kind:     global_buffer
      - .offset:         48
        .size:           8
        .value_kind:     by_value
      - .offset:         56
        .size:           8
        .value_kind:     by_value
      - .offset:         64
        .size:           8
        .value_kind:     by_value
      - .address_space:  global
        .offset:         72
        .size:           8
        .value_kind:     global_buffer
      - .offset:         80
        .size:           8
        .value_kind:     by_value
      - .address_space:  global
        .offset:         88
        .size:           8
        .value_kind:     global_buffer
      - .offset:         96
        .size:           8
        .value_kind:     by_value
      - .offset:         104
        .size:           4
        .value_kind:     by_value
      - .offset:         112
        .size:           4
        .value_kind:     hidden_block_count_x
      - .offset:         116
        .size:           4
        .value_kind:     hidden_block_count_y
      - .offset:         120
        .size:           4
        .value_kind:     hidden_block_count_z
      - .offset:         124
        .size:           2
        .value_kind:     hidden_group_size_x
      - .offset:         126
        .size:           2
        .value_kind:     hidden_group_size_y
      - .offset:         128
        .size:           2
        .value_kind:     hidden_group_size_z
      - .offset:         130
        .size:           2
        .value_kind:     hidden_remainder_x
      - .offset:         132
        .size:           2
        .value_kind:     hidden_remainder_y
      - .offset:         134
        .size:           2
        .value_kind:     hidden_remainder_z
      - .offset:         152
        .size:           8
        .value_kind:     hidden_global_offset_x
      - .offset:         160
        .size:           8
        .value_kind:     hidden_global_offset_y
      - .offset:         168
        .size:           8
        .value_kind:     hidden_global_offset_z
      - .offset:         176
        .size:           2
        .value_kind:     hidden_grid_dims
    .group_segment_fixed_size: 0
    .kernarg_segment_align: 8
    .kernarg_segment_size: 368
    .language:       OpenCL C
    .language_version:
      - 2
      - 0
    .max_flat_workgroup_size: 512
    .name:           _ZL18rocblas_rot_kernelIiLi512EdPKPdS2_PKdS4_EviT2_lllT3_lllT4_lT5_li
    .private_segment_fixed_size: 0
    .sgpr_count:     20
    .sgpr_spill_count: 0
    .symbol:         _ZL18rocblas_rot_kernelIiLi512EdPKPdS2_PKdS4_EviT2_lllT3_lllT4_lT5_li.kd
    .uniform_work_group_size: 1
    .uses_dynamic_stack: false
    .vgpr_count:     12
    .vgpr_spill_count: 0
    .wavefront_size: 32
    .workgroup_processor_mode: 1
  - .args:
      - .offset:         0
        .size:           4
        .value_kind:     by_value
      - .address_space:  global
        .offset:         8
        .size:           8
        .value_kind:     global_buffer
      - .offset:         16
        .size:           8
        .value_kind:     by_value
      - .offset:         24
        .size:           8
        .value_kind:     by_value
      - .offset:         32
        .size:           8
        .value_kind:     by_value
      - .address_space:  global
        .offset:         40
        .size:           8
        .value_kind:     global_buffer
      - .offset:         48
        .size:           8
        .value_kind:     by_value
      - .offset:         56
        .size:           8
        .value_kind:     by_value
      - .offset:         64
        .size:           8
        .value_kind:     by_value
      - .offset:         72
        .size:           8
        .value_kind:     by_value
      - .offset:         80
        .size:           8
        .value_kind:     by_value
      - .offset:         88
        .size:           8
        .value_kind:     by_value
      - .offset:         96
        .size:           8
        .value_kind:     by_value
      - .offset:         104
        .size:           4
        .value_kind:     by_value
      - .offset:         112
        .size:           4
        .value_kind:     hidden_block_count_x
      - .offset:         116
        .size:           4
        .value_kind:     hidden_block_count_y
      - .offset:         120
        .size:           4
        .value_kind:     hidden_block_count_z
      - .offset:         124
        .size:           2
        .value_kind:     hidden_group_size_x
      - .offset:         126
        .size:           2
        .value_kind:     hidden_group_size_y
      - .offset:         128
        .size:           2
        .value_kind:     hidden_group_size_z
      - .offset:         130
        .size:           2
        .value_kind:     hidden_remainder_x
      - .offset:         132
        .size:           2
        .value_kind:     hidden_remainder_y
      - .offset:         134
        .size:           2
        .value_kind:     hidden_remainder_z
      - .offset:         152
        .size:           8
        .value_kind:     hidden_global_offset_x
      - .offset:         160
        .size:           8
        .value_kind:     hidden_global_offset_y
      - .offset:         168
        .size:           8
        .value_kind:     hidden_global_offset_z
      - .offset:         176
        .size:           2
        .value_kind:     hidden_grid_dims
    .group_segment_fixed_size: 0
    .kernarg_segment_align: 8
    .kernarg_segment_size: 368
    .language:       OpenCL C
    .language_version:
      - 2
      - 0
    .max_flat_workgroup_size: 512
    .name:           _ZL18rocblas_rot_kernelIiLi512EdPKPdS2_ddEviT2_lllT3_lllT4_lT5_li
    .private_segment_fixed_size: 0
    .sgpr_count:     18
    .sgpr_spill_count: 0
    .symbol:         _ZL18rocblas_rot_kernelIiLi512EdPKPdS2_ddEviT2_lllT3_lllT4_lT5_li.kd
    .uniform_work_group_size: 1
    .uses_dynamic_stack: false
    .vgpr_count:     12
    .vgpr_spill_count: 0
    .wavefront_size: 32
    .workgroup_processor_mode: 1
  - .args:
      - .offset:         0
        .size:           4
        .value_kind:     by_value
      - .address_space:  global
        .offset:         8
        .size:           8
        .value_kind:     global_buffer
      - .offset:         16
        .size:           8
        .value_kind:     by_value
      - .offset:         24
        .size:           8
        .value_kind:     by_value
      - .offset:         32
        .size:           8
        .value_kind:     by_value
      - .address_space:  global
        .offset:         40
        .size:           8
        .value_kind:     global_buffer
      - .offset:         48
        .size:           8
        .value_kind:     by_value
      - .offset:         56
        .size:           8
        .value_kind:     by_value
      - .offset:         64
        .size:           8
        .value_kind:     by_value
      - .address_space:  global
        .offset:         72
        .size:           8
        .value_kind:     global_buffer
      - .offset:         80
        .size:           8
        .value_kind:     by_value
      - .address_space:  global
        .offset:         88
        .size:           8
        .value_kind:     global_buffer
      - .offset:         96
        .size:           8
        .value_kind:     by_value
      - .offset:         104
        .size:           4
        .value_kind:     by_value
      - .offset:         112
        .size:           4
        .value_kind:     hidden_block_count_x
      - .offset:         116
        .size:           4
        .value_kind:     hidden_block_count_y
      - .offset:         120
        .size:           4
        .value_kind:     hidden_block_count_z
      - .offset:         124
        .size:           2
        .value_kind:     hidden_group_size_x
      - .offset:         126
        .size:           2
        .value_kind:     hidden_group_size_y
      - .offset:         128
        .size:           2
        .value_kind:     hidden_group_size_z
      - .offset:         130
        .size:           2
        .value_kind:     hidden_remainder_x
      - .offset:         132
        .size:           2
        .value_kind:     hidden_remainder_y
      - .offset:         134
        .size:           2
        .value_kind:     hidden_remainder_z
      - .offset:         152
        .size:           8
        .value_kind:     hidden_global_offset_x
      - .offset:         160
        .size:           8
        .value_kind:     hidden_global_offset_y
      - .offset:         168
        .size:           8
        .value_kind:     hidden_global_offset_z
      - .offset:         176
        .size:           2
        .value_kind:     hidden_grid_dims
    .group_segment_fixed_size: 0
    .kernarg_segment_align: 8
    .kernarg_segment_size: 368
    .language:       OpenCL C
    .language_version:
      - 2
      - 0
    .max_flat_workgroup_size: 512
    .name:           _ZL18rocblas_rot_kernelIiLi512EfPKP16rocblas_bfloat16S3_PKS0_S5_EviT2_lllT3_lllT4_lT5_li
    .private_segment_fixed_size: 0
    .sgpr_count:     24
    .sgpr_spill_count: 0
    .symbol:         _ZL18rocblas_rot_kernelIiLi512EfPKP16rocblas_bfloat16S3_PKS0_S5_EviT2_lllT3_lllT4_lT5_li.kd
    .uniform_work_group_size: 1
    .uses_dynamic_stack: false
    .vgpr_count:     12
    .vgpr_spill_count: 0
    .wavefront_size: 32
    .workgroup_processor_mode: 1
  - .args:
      - .offset:         0
        .size:           4
        .value_kind:     by_value
      - .address_space:  global
        .offset:         8
        .size:           8
        .value_kind:     global_buffer
      - .offset:         16
        .size:           8
        .value_kind:     by_value
      - .offset:         24
        .size:           8
        .value_kind:     by_value
      - .offset:         32
        .size:           8
        .value_kind:     by_value
      - .address_space:  global
        .offset:         40
        .size:           8
        .value_kind:     global_buffer
      - .offset:         48
        .size:           8
        .value_kind:     by_value
      - .offset:         56
        .size:           8
        .value_kind:     by_value
      - .offset:         64
        .size:           8
        .value_kind:     by_value
      - .offset:         72
        .size:           2
        .value_kind:     by_value
      - .offset:         80
        .size:           8
        .value_kind:     by_value
      - .offset:         88
        .size:           2
        .value_kind:     by_value
      - .offset:         96
        .size:           8
        .value_kind:     by_value
      - .offset:         104
        .size:           4
        .value_kind:     by_value
      - .offset:         112
        .size:           4
        .value_kind:     hidden_block_count_x
      - .offset:         116
        .size:           4
        .value_kind:     hidden_block_count_y
      - .offset:         120
        .size:           4
        .value_kind:     hidden_block_count_z
      - .offset:         124
        .size:           2
        .value_kind:     hidden_group_size_x
      - .offset:         126
        .size:           2
        .value_kind:     hidden_group_size_y
      - .offset:         128
        .size:           2
        .value_kind:     hidden_group_size_z
      - .offset:         130
        .size:           2
        .value_kind:     hidden_remainder_x
      - .offset:         132
        .size:           2
        .value_kind:     hidden_remainder_y
      - .offset:         134
        .size:           2
        .value_kind:     hidden_remainder_z
      - .offset:         152
        .size:           8
        .value_kind:     hidden_global_offset_x
      - .offset:         160
        .size:           8
        .value_kind:     hidden_global_offset_y
      - .offset:         168
        .size:           8
        .value_kind:     hidden_global_offset_z
      - .offset:         176
        .size:           2
        .value_kind:     hidden_grid_dims
    .group_segment_fixed_size: 0
    .kernarg_segment_align: 8
    .kernarg_segment_size: 368
    .language:       OpenCL C
    .language_version:
      - 2
      - 0
    .max_flat_workgroup_size: 512
    .name:           _ZL18rocblas_rot_kernelIiLi512EfPKP16rocblas_bfloat16S3_S0_S0_EviT2_lllT3_lllT4_lT5_li
    .private_segment_fixed_size: 0
    .sgpr_count:     18
    .sgpr_spill_count: 0
    .symbol:         _ZL18rocblas_rot_kernelIiLi512EfPKP16rocblas_bfloat16S3_S0_S0_EviT2_lllT3_lllT4_lT5_li.kd
    .uniform_work_group_size: 1
    .uses_dynamic_stack: false
    .vgpr_count:     10
    .vgpr_spill_count: 0
    .wavefront_size: 32
    .workgroup_processor_mode: 1
  - .args:
      - .offset:         0
        .size:           4
        .value_kind:     by_value
      - .address_space:  global
        .offset:         8
        .size:           8
        .value_kind:     global_buffer
      - .offset:         16
        .size:           8
        .value_kind:     by_value
      - .offset:         24
        .size:           8
        .value_kind:     by_value
      - .offset:         32
        .size:           8
        .value_kind:     by_value
      - .address_space:  global
        .offset:         40
        .size:           8
        .value_kind:     global_buffer
      - .offset:         48
        .size:           8
        .value_kind:     by_value
      - .offset:         56
        .size:           8
        .value_kind:     by_value
      - .offset:         64
        .size:           8
        .value_kind:     by_value
      - .address_space:  global
        .offset:         72
        .size:           8
        .value_kind:     global_buffer
      - .offset:         80
        .size:           8
        .value_kind:     by_value
      - .address_space:  global
        .offset:         88
        .size:           8
        .value_kind:     global_buffer
      - .offset:         96
        .size:           8
        .value_kind:     by_value
      - .offset:         104
        .size:           4
        .value_kind:     by_value
      - .offset:         112
        .size:           4
        .value_kind:     hidden_block_count_x
      - .offset:         116
        .size:           4
        .value_kind:     hidden_block_count_y
      - .offset:         120
        .size:           4
        .value_kind:     hidden_block_count_z
      - .offset:         124
        .size:           2
        .value_kind:     hidden_group_size_x
      - .offset:         126
        .size:           2
        .value_kind:     hidden_group_size_y
      - .offset:         128
        .size:           2
        .value_kind:     hidden_group_size_z
      - .offset:         130
        .size:           2
        .value_kind:     hidden_remainder_x
      - .offset:         132
        .size:           2
        .value_kind:     hidden_remainder_y
      - .offset:         134
        .size:           2
        .value_kind:     hidden_remainder_z
      - .offset:         152
        .size:           8
        .value_kind:     hidden_global_offset_x
      - .offset:         160
        .size:           8
        .value_kind:     hidden_global_offset_y
      - .offset:         168
        .size:           8
        .value_kind:     hidden_global_offset_z
      - .offset:         176
        .size:           2
        .value_kind:     hidden_grid_dims
    .group_segment_fixed_size: 0
    .kernarg_segment_align: 8
    .kernarg_segment_size: 368
    .language:       OpenCL C
    .language_version:
      - 2
      - 0
    .max_flat_workgroup_size: 512
    .name:           _ZL18rocblas_rot_kernelIiLi512EfPKPDF16_S2_PKDF16_S4_EviT2_lllT3_lllT4_lT5_li
    .private_segment_fixed_size: 0
    .sgpr_count:     26
    .sgpr_spill_count: 0
    .symbol:         _ZL18rocblas_rot_kernelIiLi512EfPKPDF16_S2_PKDF16_S4_EviT2_lllT3_lllT4_lT5_li.kd
    .uniform_work_group_size: 1
    .uses_dynamic_stack: false
    .vgpr_count:     9
    .vgpr_spill_count: 0
    .wavefront_size: 32
    .workgroup_processor_mode: 1
  - .args:
      - .offset:         0
        .size:           4
        .value_kind:     by_value
      - .address_space:  global
        .offset:         8
        .size:           8
        .value_kind:     global_buffer
      - .offset:         16
        .size:           8
        .value_kind:     by_value
      - .offset:         24
        .size:           8
        .value_kind:     by_value
      - .offset:         32
        .size:           8
        .value_kind:     by_value
      - .address_space:  global
        .offset:         40
        .size:           8
        .value_kind:     global_buffer
      - .offset:         48
        .size:           8
        .value_kind:     by_value
      - .offset:         56
        .size:           8
        .value_kind:     by_value
      - .offset:         64
        .size:           8
        .value_kind:     by_value
      - .offset:         72
        .size:           2
        .value_kind:     by_value
      - .offset:         80
        .size:           8
        .value_kind:     by_value
      - .offset:         88
        .size:           2
        .value_kind:     by_value
      - .offset:         96
        .size:           8
        .value_kind:     by_value
      - .offset:         104
        .size:           4
        .value_kind:     by_value
      - .offset:         112
        .size:           4
        .value_kind:     hidden_block_count_x
      - .offset:         116
        .size:           4
        .value_kind:     hidden_block_count_y
      - .offset:         120
        .size:           4
        .value_kind:     hidden_block_count_z
      - .offset:         124
        .size:           2
        .value_kind:     hidden_group_size_x
      - .offset:         126
        .size:           2
        .value_kind:     hidden_group_size_y
      - .offset:         128
        .size:           2
        .value_kind:     hidden_group_size_z
      - .offset:         130
        .size:           2
        .value_kind:     hidden_remainder_x
      - .offset:         132
        .size:           2
        .value_kind:     hidden_remainder_y
      - .offset:         134
        .size:           2
        .value_kind:     hidden_remainder_z
      - .offset:         152
        .size:           8
        .value_kind:     hidden_global_offset_x
      - .offset:         160
        .size:           8
        .value_kind:     hidden_global_offset_y
      - .offset:         168
        .size:           8
        .value_kind:     hidden_global_offset_z
      - .offset:         176
        .size:           2
        .value_kind:     hidden_grid_dims
    .group_segment_fixed_size: 0
    .kernarg_segment_align: 8
    .kernarg_segment_size: 368
    .language:       OpenCL C
    .language_version:
      - 2
      - 0
    .max_flat_workgroup_size: 512
    .name:           _ZL18rocblas_rot_kernelIiLi512EfPKPDF16_S2_DF16_DF16_EviT2_lllT3_lllT4_lT5_li
    .private_segment_fixed_size: 0
    .sgpr_count:     18
    .sgpr_spill_count: 0
    .symbol:         _ZL18rocblas_rot_kernelIiLi512EfPKPDF16_S2_DF16_DF16_EviT2_lllT3_lllT4_lT5_li.kd
    .uniform_work_group_size: 1
    .uses_dynamic_stack: false
    .vgpr_count:     8
    .vgpr_spill_count: 0
    .wavefront_size: 32
    .workgroup_processor_mode: 1
  - .args:
      - .offset:         0
        .size:           4
        .value_kind:     by_value
      - .address_space:  global
        .offset:         8
        .size:           8
        .value_kind:     global_buffer
      - .offset:         16
        .size:           8
        .value_kind:     by_value
      - .offset:         24
        .size:           8
        .value_kind:     by_value
      - .offset:         32
        .size:           8
        .value_kind:     by_value
      - .address_space:  global
        .offset:         40
        .size:           8
        .value_kind:     global_buffer
      - .offset:         48
        .size:           8
        .value_kind:     by_value
      - .offset:         56
        .size:           8
        .value_kind:     by_value
      - .offset:         64
        .size:           8
        .value_kind:     by_value
      - .address_space:  global
        .offset:         72
        .size:           8
        .value_kind:     global_buffer
      - .offset:         80
        .size:           8
        .value_kind:     by_value
      - .address_space:  global
        .offset:         88
        .size:           8
        .value_kind:     global_buffer
      - .offset:         96
        .size:           8
        .value_kind:     by_value
      - .offset:         104
        .size:           4
        .value_kind:     by_value
      - .offset:         112
        .size:           4
        .value_kind:     hidden_block_count_x
      - .offset:         116
        .size:           4
        .value_kind:     hidden_block_count_y
      - .offset:         120
        .size:           4
        .value_kind:     hidden_block_count_z
      - .offset:         124
        .size:           2
        .value_kind:     hidden_group_size_x
      - .offset:         126
        .size:           2
        .value_kind:     hidden_group_size_y
      - .offset:         128
        .size:           2
        .value_kind:     hidden_group_size_z
      - .offset:         130
        .size:           2
        .value_kind:     hidden_remainder_x
      - .offset:         132
        .size:           2
        .value_kind:     hidden_remainder_y
      - .offset:         134
        .size:           2
        .value_kind:     hidden_remainder_z
      - .offset:         152
        .size:           8
        .value_kind:     hidden_global_offset_x
      - .offset:         160
        .size:           8
        .value_kind:     hidden_global_offset_y
      - .offset:         168
        .size:           8
        .value_kind:     hidden_global_offset_z
      - .offset:         176
        .size:           2
        .value_kind:     hidden_grid_dims
    .group_segment_fixed_size: 0
    .kernarg_segment_align: 8
    .kernarg_segment_size: 368
    .language:       OpenCL C
    .language_version:
      - 2
      - 0
    .max_flat_workgroup_size: 512
    .name:           _ZL18rocblas_rot_kernelIiLi512E19rocblas_complex_numIfEPKPS1_S4_PKfS6_EviT2_lllT3_lllT4_lT5_li
    .private_segment_fixed_size: 0
    .sgpr_count:     20
    .sgpr_spill_count: 0
    .symbol:         _ZL18rocblas_rot_kernelIiLi512E19rocblas_complex_numIfEPKPS1_S4_PKfS6_EviT2_lllT3_lllT4_lT5_li.kd
    .uniform_work_group_size: 1
    .uses_dynamic_stack: false
    .vgpr_count:     12
    .vgpr_spill_count: 0
    .wavefront_size: 32
    .workgroup_processor_mode: 1
  - .args:
      - .offset:         0
        .size:           4
        .value_kind:     by_value
      - .address_space:  global
        .offset:         8
        .size:           8
        .value_kind:     global_buffer
      - .offset:         16
        .size:           8
        .value_kind:     by_value
      - .offset:         24
        .size:           8
        .value_kind:     by_value
      - .offset:         32
        .size:           8
        .value_kind:     by_value
      - .address_space:  global
        .offset:         40
        .size:           8
        .value_kind:     global_buffer
      - .offset:         48
        .size:           8
        .value_kind:     by_value
      - .offset:         56
        .size:           8
        .value_kind:     by_value
      - .offset:         64
        .size:           8
        .value_kind:     by_value
      - .offset:         72
        .size:           4
        .value_kind:     by_value
      - .offset:         80
        .size:           8
        .value_kind:     by_value
      - .offset:         88
        .size:           4
        .value_kind:     by_value
      - .offset:         96
        .size:           8
        .value_kind:     by_value
      - .offset:         104
        .size:           4
        .value_kind:     by_value
      - .offset:         112
        .size:           4
        .value_kind:     hidden_block_count_x
      - .offset:         116
        .size:           4
        .value_kind:     hidden_block_count_y
      - .offset:         120
        .size:           4
        .value_kind:     hidden_block_count_z
      - .offset:         124
        .size:           2
        .value_kind:     hidden_group_size_x
      - .offset:         126
        .size:           2
        .value_kind:     hidden_group_size_y
      - .offset:         128
        .size:           2
        .value_kind:     hidden_group_size_z
      - .offset:         130
        .size:           2
        .value_kind:     hidden_remainder_x
      - .offset:         132
        .size:           2
        .value_kind:     hidden_remainder_y
      - .offset:         134
        .size:           2
        .value_kind:     hidden_remainder_z
      - .offset:         152
        .size:           8
        .value_kind:     hidden_global_offset_x
      - .offset:         160
        .size:           8
        .value_kind:     hidden_global_offset_y
      - .offset:         168
        .size:           8
        .value_kind:     hidden_global_offset_z
      - .offset:         176
        .size:           2
        .value_kind:     hidden_grid_dims
    .group_segment_fixed_size: 0
    .kernarg_segment_align: 8
    .kernarg_segment_size: 368
    .language:       OpenCL C
    .language_version:
      - 2
      - 0
    .max_flat_workgroup_size: 512
    .name:           _ZL18rocblas_rot_kernelIiLi512E19rocblas_complex_numIfEPKPS1_S4_ffEviT2_lllT3_lllT4_lT5_li
    .private_segment_fixed_size: 0
    .sgpr_count:     18
    .sgpr_spill_count: 0
    .symbol:         _ZL18rocblas_rot_kernelIiLi512E19rocblas_complex_numIfEPKPS1_S4_ffEviT2_lllT3_lllT4_lT5_li.kd
    .uniform_work_group_size: 1
    .uses_dynamic_stack: false
    .vgpr_count:     12
    .vgpr_spill_count: 0
    .wavefront_size: 32
    .workgroup_processor_mode: 1
  - .args:
      - .offset:         0
        .size:           4
        .value_kind:     by_value
      - .address_space:  global
        .offset:         8
        .size:           8
        .value_kind:     global_buffer
      - .offset:         16
        .size:           8
        .value_kind:     by_value
      - .offset:         24
        .size:           8
        .value_kind:     by_value
      - .offset:         32
        .size:           8
        .value_kind:     by_value
      - .address_space:  global
        .offset:         40
        .size:           8
        .value_kind:     global_buffer
      - .offset:         48
        .size:           8
        .value_kind:     by_value
      - .offset:         56
        .size:           8
        .value_kind:     by_value
      - .offset:         64
        .size:           8
        .value_kind:     by_value
      - .address_space:  global
        .offset:         72
        .size:           8
        .value_kind:     global_buffer
      - .offset:         80
        .size:           8
        .value_kind:     by_value
      - .address_space:  global
        .offset:         88
        .size:           8
        .value_kind:     global_buffer
      - .offset:         96
        .size:           8
        .value_kind:     by_value
      - .offset:         104
        .size:           4
        .value_kind:     by_value
      - .offset:         112
        .size:           4
        .value_kind:     hidden_block_count_x
      - .offset:         116
        .size:           4
        .value_kind:     hidden_block_count_y
      - .offset:         120
        .size:           4
        .value_kind:     hidden_block_count_z
      - .offset:         124
        .size:           2
        .value_kind:     hidden_group_size_x
      - .offset:         126
        .size:           2
        .value_kind:     hidden_group_size_y
      - .offset:         128
        .size:           2
        .value_kind:     hidden_group_size_z
      - .offset:         130
        .size:           2
        .value_kind:     hidden_remainder_x
      - .offset:         132
        .size:           2
        .value_kind:     hidden_remainder_y
      - .offset:         134
        .size:           2
        .value_kind:     hidden_remainder_z
      - .offset:         152
        .size:           8
        .value_kind:     hidden_global_offset_x
      - .offset:         160
        .size:           8
        .value_kind:     hidden_global_offset_y
      - .offset:         168
        .size:           8
        .value_kind:     hidden_global_offset_z
      - .offset:         176
        .size:           2
        .value_kind:     hidden_grid_dims
    .group_segment_fixed_size: 0
    .kernarg_segment_align: 8
    .kernarg_segment_size: 368
    .language:       OpenCL C
    .language_version:
      - 2
      - 0
    .max_flat_workgroup_size: 512
    .name:           _ZL18rocblas_rot_kernelIiLi512E19rocblas_complex_numIfEPKPS1_S4_PKfPKS1_EviT2_lllT3_lllT4_lT5_li
    .private_segment_fixed_size: 0
    .sgpr_count:     20
    .sgpr_spill_count: 0
    .symbol:         _ZL18rocblas_rot_kernelIiLi512E19rocblas_complex_numIfEPKPS1_S4_PKfPKS1_EviT2_lllT3_lllT4_lT5_li.kd
    .uniform_work_group_size: 1
    .uses_dynamic_stack: false
    .vgpr_count:     12
    .vgpr_spill_count: 0
    .wavefront_size: 32
    .workgroup_processor_mode: 1
  - .args:
      - .offset:         0
        .size:           4
        .value_kind:     by_value
      - .address_space:  global
        .offset:         8
        .size:           8
        .value_kind:     global_buffer
      - .offset:         16
        .size:           8
        .value_kind:     by_value
      - .offset:         24
        .size:           8
        .value_kind:     by_value
      - .offset:         32
        .size:           8
        .value_kind:     by_value
      - .address_space:  global
        .offset:         40
        .size:           8
        .value_kind:     global_buffer
      - .offset:         48
        .size:           8
        .value_kind:     by_value
      - .offset:         56
        .size:           8
        .value_kind:     by_value
      - .offset:         64
        .size:           8
        .value_kind:     by_value
      - .offset:         72
        .size:           4
        .value_kind:     by_value
      - .offset:         80
        .size:           8
        .value_kind:     by_value
      - .offset:         88
        .size:           8
        .value_kind:     by_value
      - .offset:         96
        .size:           8
        .value_kind:     by_value
      - .offset:         104
        .size:           4
        .value_kind:     by_value
      - .offset:         112
        .size:           4
        .value_kind:     hidden_block_count_x
      - .offset:         116
        .size:           4
        .value_kind:     hidden_block_count_y
      - .offset:         120
        .size:           4
        .value_kind:     hidden_block_count_z
      - .offset:         124
        .size:           2
        .value_kind:     hidden_group_size_x
      - .offset:         126
        .size:           2
        .value_kind:     hidden_group_size_y
      - .offset:         128
        .size:           2
        .value_kind:     hidden_group_size_z
      - .offset:         130
        .size:           2
        .value_kind:     hidden_remainder_x
      - .offset:         132
        .size:           2
        .value_kind:     hidden_remainder_y
      - .offset:         134
        .size:           2
        .value_kind:     hidden_remainder_z
      - .offset:         152
        .size:           8
        .value_kind:     hidden_global_offset_x
      - .offset:         160
        .size:           8
        .value_kind:     hidden_global_offset_y
      - .offset:         168
        .size:           8
        .value_kind:     hidden_global_offset_z
      - .offset:         176
        .size:           2
        .value_kind:     hidden_grid_dims
    .group_segment_fixed_size: 0
    .kernarg_segment_align: 8
    .kernarg_segment_size: 368
    .language:       OpenCL C
    .language_version:
      - 2
      - 0
    .max_flat_workgroup_size: 512
    .name:           _ZL18rocblas_rot_kernelIiLi512E19rocblas_complex_numIfEPKPS1_S4_fS1_EviT2_lllT3_lllT4_lT5_li
    .private_segment_fixed_size: 0
    .sgpr_count:     18
    .sgpr_spill_count: 0
    .symbol:         _ZL18rocblas_rot_kernelIiLi512E19rocblas_complex_numIfEPKPS1_S4_fS1_EviT2_lllT3_lllT4_lT5_li.kd
    .uniform_work_group_size: 1
    .uses_dynamic_stack: false
    .vgpr_count:     12
    .vgpr_spill_count: 0
    .wavefront_size: 32
    .workgroup_processor_mode: 1
  - .args:
      - .offset:         0
        .size:           4
        .value_kind:     by_value
      - .address_space:  global
        .offset:         8
        .size:           8
        .value_kind:     global_buffer
      - .offset:         16
        .size:           8
        .value_kind:     by_value
      - .offset:         24
        .size:           8
        .value_kind:     by_value
      - .offset:         32
        .size:           8
        .value_kind:     by_value
      - .address_space:  global
        .offset:         40
        .size:           8
        .value_kind:     global_buffer
      - .offset:         48
        .size:           8
        .value_kind:     by_value
      - .offset:         56
        .size:           8
        .value_kind:     by_value
      - .offset:         64
        .size:           8
        .value_kind:     by_value
      - .address_space:  global
        .offset:         72
        .size:           8
        .value_kind:     global_buffer
      - .offset:         80
        .size:           8
        .value_kind:     by_value
      - .address_space:  global
        .offset:         88
        .size:           8
        .value_kind:     global_buffer
      - .offset:         96
        .size:           8
        .value_kind:     by_value
      - .offset:         104
        .size:           4
        .value_kind:     by_value
      - .offset:         112
        .size:           4
        .value_kind:     hidden_block_count_x
      - .offset:         116
        .size:           4
        .value_kind:     hidden_block_count_y
      - .offset:         120
        .size:           4
        .value_kind:     hidden_block_count_z
      - .offset:         124
        .size:           2
        .value_kind:     hidden_group_size_x
      - .offset:         126
        .size:           2
        .value_kind:     hidden_group_size_y
      - .offset:         128
        .size:           2
        .value_kind:     hidden_group_size_z
      - .offset:         130
        .size:           2
        .value_kind:     hidden_remainder_x
      - .offset:         132
        .size:           2
        .value_kind:     hidden_remainder_y
      - .offset:         134
        .size:           2
        .value_kind:     hidden_remainder_z
      - .offset:         152
        .size:           8
        .value_kind:     hidden_global_offset_x
      - .offset:         160
        .size:           8
        .value_kind:     hidden_global_offset_y
      - .offset:         168
        .size:           8
        .value_kind:     hidden_global_offset_z
      - .offset:         176
        .size:           2
        .value_kind:     hidden_grid_dims
    .group_segment_fixed_size: 0
    .kernarg_segment_align: 8
    .kernarg_segment_size: 368
    .language:       OpenCL C
    .language_version:
      - 2
      - 0
    .max_flat_workgroup_size: 512
    .name:           _ZL18rocblas_rot_kernelIiLi512E19rocblas_complex_numIfEPKPS1_S4_PKS1_S6_EviT2_lllT3_lllT4_lT5_li
    .private_segment_fixed_size: 0
    .sgpr_count:     20
    .sgpr_spill_count: 0
    .symbol:         _ZL18rocblas_rot_kernelIiLi512E19rocblas_complex_numIfEPKPS1_S4_PKS1_S6_EviT2_lllT3_lllT4_lT5_li.kd
    .uniform_work_group_size: 1
    .uses_dynamic_stack: false
    .vgpr_count:     12
    .vgpr_spill_count: 0
    .wavefront_size: 32
    .workgroup_processor_mode: 1
  - .args:
      - .offset:         0
        .size:           4
        .value_kind:     by_value
      - .address_space:  global
        .offset:         8
        .size:           8
        .value_kind:     global_buffer
      - .offset:         16
        .size:           8
        .value_kind:     by_value
      - .offset:         24
        .size:           8
        .value_kind:     by_value
      - .offset:         32
        .size:           8
        .value_kind:     by_value
      - .address_space:  global
        .offset:         40
        .size:           8
        .value_kind:     global_buffer
      - .offset:         48
        .size:           8
        .value_kind:     by_value
      - .offset:         56
        .size:           8
        .value_kind:     by_value
      - .offset:         64
        .size:           8
        .value_kind:     by_value
      - .offset:         72
        .size:           8
        .value_kind:     by_value
      - .offset:         80
        .size:           8
        .value_kind:     by_value
      - .offset:         88
        .size:           8
        .value_kind:     by_value
      - .offset:         96
        .size:           8
        .value_kind:     by_value
      - .offset:         104
        .size:           4
        .value_kind:     by_value
      - .offset:         112
        .size:           4
        .value_kind:     hidden_block_count_x
      - .offset:         116
        .size:           4
        .value_kind:     hidden_block_count_y
      - .offset:         120
        .size:           4
        .value_kind:     hidden_block_count_z
      - .offset:         124
        .size:           2
        .value_kind:     hidden_group_size_x
      - .offset:         126
        .size:           2
        .value_kind:     hidden_group_size_y
      - .offset:         128
        .size:           2
        .value_kind:     hidden_group_size_z
      - .offset:         130
        .size:           2
        .value_kind:     hidden_remainder_x
      - .offset:         132
        .size:           2
        .value_kind:     hidden_remainder_y
      - .offset:         134
        .size:           2
        .value_kind:     hidden_remainder_z
      - .offset:         152
        .size:           8
        .value_kind:     hidden_global_offset_x
      - .offset:         160
        .size:           8
        .value_kind:     hidden_global_offset_y
      - .offset:         168
        .size:           8
        .value_kind:     hidden_global_offset_z
      - .offset:         176
        .size:           2
        .value_kind:     hidden_grid_dims
    .group_segment_fixed_size: 0
    .kernarg_segment_align: 8
    .kernarg_segment_size: 368
    .language:       OpenCL C
    .language_version:
      - 2
      - 0
    .max_flat_workgroup_size: 512
    .name:           _ZL18rocblas_rot_kernelIiLi512E19rocblas_complex_numIfEPKPS1_S4_S1_S1_EviT2_lllT3_lllT4_lT5_li
    .private_segment_fixed_size: 0
    .sgpr_count:     18
    .sgpr_spill_count: 0
    .symbol:         _ZL18rocblas_rot_kernelIiLi512E19rocblas_complex_numIfEPKPS1_S4_S1_S1_EviT2_lllT3_lllT4_lT5_li.kd
    .uniform_work_group_size: 1
    .uses_dynamic_stack: false
    .vgpr_count:     12
    .vgpr_spill_count: 0
    .wavefront_size: 32
    .workgroup_processor_mode: 1
  - .args:
      - .offset:         0
        .size:           4
        .value_kind:     by_value
      - .address_space:  global
        .offset:         8
        .size:           8
        .value_kind:     global_buffer
      - .offset:         16
        .size:           8
        .value_kind:     by_value
      - .offset:         24
        .size:           8
        .value_kind:     by_value
      - .offset:         32
        .size:           8
        .value_kind:     by_value
      - .address_space:  global
        .offset:         40
        .size:           8
        .value_kind:     global_buffer
      - .offset:         48
        .size:           8
        .value_kind:     by_value
      - .offset:         56
        .size:           8
        .value_kind:     by_value
      - .offset:         64
        .size:           8
        .value_kind:     by_value
      - .address_space:  global
        .offset:         72
        .size:           8
        .value_kind:     global_buffer
      - .offset:         80
        .size:           8
        .value_kind:     by_value
      - .address_space:  global
        .offset:         88
        .size:           8
        .value_kind:     global_buffer
      - .offset:         96
        .size:           8
        .value_kind:     by_value
      - .offset:         104
        .size:           4
        .value_kind:     by_value
      - .offset:         112
        .size:           4
        .value_kind:     hidden_block_count_x
      - .offset:         116
        .size:           4
        .value_kind:     hidden_block_count_y
      - .offset:         120
        .size:           4
        .value_kind:     hidden_block_count_z
      - .offset:         124
        .size:           2
        .value_kind:     hidden_group_size_x
      - .offset:         126
        .size:           2
        .value_kind:     hidden_group_size_y
      - .offset:         128
        .size:           2
        .value_kind:     hidden_group_size_z
      - .offset:         130
        .size:           2
        .value_kind:     hidden_remainder_x
      - .offset:         132
        .size:           2
        .value_kind:     hidden_remainder_y
      - .offset:         134
        .size:           2
        .value_kind:     hidden_remainder_z
      - .offset:         152
        .size:           8
        .value_kind:     hidden_global_offset_x
      - .offset:         160
        .size:           8
        .value_kind:     hidden_global_offset_y
      - .offset:         168
        .size:           8
        .value_kind:     hidden_global_offset_z
      - .offset:         176
        .size:           2
        .value_kind:     hidden_grid_dims
    .group_segment_fixed_size: 0
    .kernarg_segment_align: 8
    .kernarg_segment_size: 368
    .language:       OpenCL C
    .language_version:
      - 2
      - 0
    .max_flat_workgroup_size: 512
    .name:           _ZL18rocblas_rot_kernelIiLi512E19rocblas_complex_numIdEPKPS1_S4_PKS1_S6_EviT2_lllT3_lllT4_lT5_li
    .private_segment_fixed_size: 0
    .sgpr_count:     20
    .sgpr_spill_count: 0
    .symbol:         _ZL18rocblas_rot_kernelIiLi512E19rocblas_complex_numIdEPKPS1_S4_PKS1_S6_EviT2_lllT3_lllT4_lT5_li.kd
    .uniform_work_group_size: 1
    .uses_dynamic_stack: false
    .vgpr_count:     20
    .vgpr_spill_count: 0
    .wavefront_size: 32
    .workgroup_processor_mode: 1
  - .args:
      - .offset:         0
        .size:           4
        .value_kind:     by_value
      - .address_space:  global
        .offset:         8
        .size:           8
        .value_kind:     global_buffer
      - .offset:         16
        .size:           8
        .value_kind:     by_value
      - .offset:         24
        .size:           8
        .value_kind:     by_value
      - .offset:         32
        .size:           8
        .value_kind:     by_value
      - .address_space:  global
        .offset:         40
        .size:           8
        .value_kind:     global_buffer
      - .offset:         48
        .size:           8
        .value_kind:     by_value
      - .offset:         56
        .size:           8
        .value_kind:     by_value
      - .offset:         64
        .size:           8
        .value_kind:     by_value
      - .offset:         72
        .size:           16
        .value_kind:     by_value
      - .offset:         88
        .size:           8
        .value_kind:     by_value
      - .offset:         96
        .size:           16
        .value_kind:     by_value
      - .offset:         112
        .size:           8
        .value_kind:     by_value
      - .offset:         120
        .size:           4
        .value_kind:     by_value
      - .offset:         128
        .size:           4
        .value_kind:     hidden_block_count_x
      - .offset:         132
        .size:           4
        .value_kind:     hidden_block_count_y
      - .offset:         136
        .size:           4
        .value_kind:     hidden_block_count_z
      - .offset:         140
        .size:           2
        .value_kind:     hidden_group_size_x
      - .offset:         142
        .size:           2
        .value_kind:     hidden_group_size_y
      - .offset:         144
        .size:           2
        .value_kind:     hidden_group_size_z
      - .offset:         146
        .size:           2
        .value_kind:     hidden_remainder_x
      - .offset:         148
        .size:           2
        .value_kind:     hidden_remainder_y
      - .offset:         150
        .size:           2
        .value_kind:     hidden_remainder_z
      - .offset:         168
        .size:           8
        .value_kind:     hidden_global_offset_x
      - .offset:         176
        .size:           8
        .value_kind:     hidden_global_offset_y
      - .offset:         184
        .size:           8
        .value_kind:     hidden_global_offset_z
      - .offset:         192
        .size:           2
        .value_kind:     hidden_grid_dims
    .group_segment_fixed_size: 0
    .kernarg_segment_align: 8
    .kernarg_segment_size: 384
    .language:       OpenCL C
    .language_version:
      - 2
      - 0
    .max_flat_workgroup_size: 512
    .name:           _ZL18rocblas_rot_kernelIiLi512E19rocblas_complex_numIdEPKPS1_S4_S1_S1_EviT2_lllT3_lllT4_lT5_li
    .private_segment_fixed_size: 0
    .sgpr_count:     18
    .sgpr_spill_count: 0
    .symbol:         _ZL18rocblas_rot_kernelIiLi512E19rocblas_complex_numIdEPKPS1_S4_S1_S1_EviT2_lllT3_lllT4_lT5_li.kd
    .uniform_work_group_size: 1
    .uses_dynamic_stack: false
    .vgpr_count:     20
    .vgpr_spill_count: 0
    .wavefront_size: 32
    .workgroup_processor_mode: 1
  - .args:
      - .offset:         0
        .size:           4
        .value_kind:     by_value
      - .address_space:  global
        .offset:         8
        .size:           8
        .value_kind:     global_buffer
      - .offset:         16
        .size:           8
        .value_kind:     by_value
      - .offset:         24
        .size:           8
        .value_kind:     by_value
      - .offset:         32
        .size:           8
        .value_kind:     by_value
      - .address_space:  global
        .offset:         40
        .size:           8
        .value_kind:     global_buffer
      - .offset:         48
        .size:           8
        .value_kind:     by_value
      - .offset:         56
        .size:           8
        .value_kind:     by_value
      - .offset:         64
        .size:           8
        .value_kind:     by_value
      - .address_space:  global
        .offset:         72
        .size:           8
        .value_kind:     global_buffer
      - .offset:         80
        .size:           8
        .value_kind:     by_value
      - .address_space:  global
        .offset:         88
        .size:           8
        .value_kind:     global_buffer
      - .offset:         96
        .size:           8
        .value_kind:     by_value
      - .offset:         104
        .size:           4
        .value_kind:     by_value
      - .offset:         112
        .size:           4
        .value_kind:     hidden_block_count_x
      - .offset:         116
        .size:           4
        .value_kind:     hidden_block_count_y
      - .offset:         120
        .size:           4
        .value_kind:     hidden_block_count_z
      - .offset:         124
        .size:           2
        .value_kind:     hidden_group_size_x
      - .offset:         126
        .size:           2
        .value_kind:     hidden_group_size_y
      - .offset:         128
        .size:           2
        .value_kind:     hidden_group_size_z
      - .offset:         130
        .size:           2
        .value_kind:     hidden_remainder_x
      - .offset:         132
        .size:           2
        .value_kind:     hidden_remainder_y
      - .offset:         134
        .size:           2
        .value_kind:     hidden_remainder_z
      - .offset:         152
        .size:           8
        .value_kind:     hidden_global_offset_x
      - .offset:         160
        .size:           8
        .value_kind:     hidden_global_offset_y
      - .offset:         168
        .size:           8
        .value_kind:     hidden_global_offset_z
      - .offset:         176
        .size:           2
        .value_kind:     hidden_grid_dims
    .group_segment_fixed_size: 0
    .kernarg_segment_align: 8
    .kernarg_segment_size: 368
    .language:       OpenCL C
    .language_version:
      - 2
      - 0
    .max_flat_workgroup_size: 512
    .name:           _ZL18rocblas_rot_kernelIiLi512E19rocblas_complex_numIdEPKPS1_S4_PKdS6_EviT2_lllT3_lllT4_lT5_li
    .private_segment_fixed_size: 0
    .sgpr_count:     20
    .sgpr_spill_count: 0
    .symbol:         _ZL18rocblas_rot_kernelIiLi512E19rocblas_complex_numIdEPKPS1_S4_PKdS6_EviT2_lllT3_lllT4_lT5_li.kd
    .uniform_work_group_size: 1
    .uses_dynamic_stack: false
    .vgpr_count:     20
    .vgpr_spill_count: 0
    .wavefront_size: 32
    .workgroup_processor_mode: 1
  - .args:
      - .offset:         0
        .size:           4
        .value_kind:     by_value
      - .address_space:  global
        .offset:         8
        .size:           8
        .value_kind:     global_buffer
      - .offset:         16
        .size:           8
        .value_kind:     by_value
      - .offset:         24
        .size:           8
        .value_kind:     by_value
      - .offset:         32
        .size:           8
        .value_kind:     by_value
      - .address_space:  global
        .offset:         40
        .size:           8
        .value_kind:     global_buffer
      - .offset:         48
        .size:           8
        .value_kind:     by_value
      - .offset:         56
        .size:           8
        .value_kind:     by_value
      - .offset:         64
        .size:           8
        .value_kind:     by_value
      - .offset:         72
        .size:           8
        .value_kind:     by_value
      - .offset:         80
        .size:           8
        .value_kind:     by_value
      - .offset:         88
        .size:           8
        .value_kind:     by_value
      - .offset:         96
        .size:           8
        .value_kind:     by_value
      - .offset:         104
        .size:           4
        .value_kind:     by_value
      - .offset:         112
        .size:           4
        .value_kind:     hidden_block_count_x
      - .offset:         116
        .size:           4
        .value_kind:     hidden_block_count_y
      - .offset:         120
        .size:           4
        .value_kind:     hidden_block_count_z
      - .offset:         124
        .size:           2
        .value_kind:     hidden_group_size_x
      - .offset:         126
        .size:           2
        .value_kind:     hidden_group_size_y
      - .offset:         128
        .size:           2
        .value_kind:     hidden_group_size_z
      - .offset:         130
        .size:           2
        .value_kind:     hidden_remainder_x
      - .offset:         132
        .size:           2
        .value_kind:     hidden_remainder_y
      - .offset:         134
        .size:           2
        .value_kind:     hidden_remainder_z
      - .offset:         152
        .size:           8
        .value_kind:     hidden_global_offset_x
      - .offset:         160
        .size:           8
        .value_kind:     hidden_global_offset_y
      - .offset:         168
        .size:           8
        .value_kind:     hidden_global_offset_z
      - .offset:         176
        .size:           2
        .value_kind:     hidden_grid_dims
    .group_segment_fixed_size: 0
    .kernarg_segment_align: 8
    .kernarg_segment_size: 368
    .language:       OpenCL C
    .language_version:
      - 2
      - 0
    .max_flat_workgroup_size: 512
    .name:           _ZL18rocblas_rot_kernelIiLi512E19rocblas_complex_numIdEPKPS1_S4_ddEviT2_lllT3_lllT4_lT5_li
    .private_segment_fixed_size: 0
    .sgpr_count:     18
    .sgpr_spill_count: 0
    .symbol:         _ZL18rocblas_rot_kernelIiLi512E19rocblas_complex_numIdEPKPS1_S4_ddEviT2_lllT3_lllT4_lT5_li.kd
    .uniform_work_group_size: 1
    .uses_dynamic_stack: false
    .vgpr_count:     20
    .vgpr_spill_count: 0
    .wavefront_size: 32
    .workgroup_processor_mode: 1
  - .args:
      - .offset:         0
        .size:           4
        .value_kind:     by_value
      - .address_space:  global
        .offset:         8
        .size:           8
        .value_kind:     global_buffer
      - .offset:         16
        .size:           8
        .value_kind:     by_value
      - .offset:         24
        .size:           8
        .value_kind:     by_value
      - .offset:         32
        .size:           8
        .value_kind:     by_value
      - .address_space:  global
        .offset:         40
        .size:           8
        .value_kind:     global_buffer
      - .offset:         48
        .size:           8
        .value_kind:     by_value
      - .offset:         56
        .size:           8
        .value_kind:     by_value
      - .offset:         64
        .size:           8
        .value_kind:     by_value
      - .address_space:  global
        .offset:         72
        .size:           8
        .value_kind:     global_buffer
      - .offset:         80
        .size:           8
        .value_kind:     by_value
      - .address_space:  global
        .offset:         88
        .size:           8
        .value_kind:     global_buffer
      - .offset:         96
        .size:           8
        .value_kind:     by_value
      - .offset:         104
        .size:           4
        .value_kind:     by_value
      - .offset:         112
        .size:           4
        .value_kind:     hidden_block_count_x
      - .offset:         116
        .size:           4
        .value_kind:     hidden_block_count_y
      - .offset:         120
        .size:           4
        .value_kind:     hidden_block_count_z
      - .offset:         124
        .size:           2
        .value_kind:     hidden_group_size_x
      - .offset:         126
        .size:           2
        .value_kind:     hidden_group_size_y
      - .offset:         128
        .size:           2
        .value_kind:     hidden_group_size_z
      - .offset:         130
        .size:           2
        .value_kind:     hidden_remainder_x
      - .offset:         132
        .size:           2
        .value_kind:     hidden_remainder_y
      - .offset:         134
        .size:           2
        .value_kind:     hidden_remainder_z
      - .offset:         152
        .size:           8
        .value_kind:     hidden_global_offset_x
      - .offset:         160
        .size:           8
        .value_kind:     hidden_global_offset_y
      - .offset:         168
        .size:           8
        .value_kind:     hidden_global_offset_z
      - .offset:         176
        .size:           2
        .value_kind:     hidden_grid_dims
    .group_segment_fixed_size: 0
    .kernarg_segment_align: 8
    .kernarg_segment_size: 368
    .language:       OpenCL C
    .language_version:
      - 2
      - 0
    .max_flat_workgroup_size: 512
    .name:           _ZL18rocblas_rot_kernelIiLi512E19rocblas_complex_numIdEPKPS1_S4_PKdPKS1_EviT2_lllT3_lllT4_lT5_li
    .private_segment_fixed_size: 0
    .sgpr_count:     20
    .sgpr_spill_count: 0
    .symbol:         _ZL18rocblas_rot_kernelIiLi512E19rocblas_complex_numIdEPKPS1_S4_PKdPKS1_EviT2_lllT3_lllT4_lT5_li.kd
    .uniform_work_group_size: 1
    .uses_dynamic_stack: false
    .vgpr_count:     20
    .vgpr_spill_count: 0
    .wavefront_size: 32
    .workgroup_processor_mode: 1
  - .args:
      - .offset:         0
        .size:           4
        .value_kind:     by_value
      - .address_space:  global
        .offset:         8
        .size:           8
        .value_kind:     global_buffer
      - .offset:         16
        .size:           8
        .value_kind:     by_value
      - .offset:         24
        .size:           8
        .value_kind:     by_value
      - .offset:         32
        .size:           8
        .value_kind:     by_value
      - .address_space:  global
        .offset:         40
        .size:           8
        .value_kind:     global_buffer
      - .offset:         48
        .size:           8
        .value_kind:     by_value
      - .offset:         56
        .size:           8
        .value_kind:     by_value
      - .offset:         64
        .size:           8
        .value_kind:     by_value
      - .offset:         72
        .size:           8
        .value_kind:     by_value
      - .offset:         80
        .size:           8
        .value_kind:     by_value
      - .offset:         88
        .size:           16
        .value_kind:     by_value
      - .offset:         104
        .size:           8
        .value_kind:     by_value
      - .offset:         112
        .size:           4
        .value_kind:     by_value
      - .offset:         120
        .size:           4
        .value_kind:     hidden_block_count_x
      - .offset:         124
        .size:           4
        .value_kind:     hidden_block_count_y
      - .offset:         128
        .size:           4
        .value_kind:     hidden_block_count_z
      - .offset:         132
        .size:           2
        .value_kind:     hidden_group_size_x
      - .offset:         134
        .size:           2
        .value_kind:     hidden_group_size_y
      - .offset:         136
        .size:           2
        .value_kind:     hidden_group_size_z
      - .offset:         138
        .size:           2
        .value_kind:     hidden_remainder_x
      - .offset:         140
        .size:           2
        .value_kind:     hidden_remainder_y
      - .offset:         142
        .size:           2
        .value_kind:     hidden_remainder_z
      - .offset:         160
        .size:           8
        .value_kind:     hidden_global_offset_x
      - .offset:         168
        .size:           8
        .value_kind:     hidden_global_offset_y
      - .offset:         176
        .size:           8
        .value_kind:     hidden_global_offset_z
      - .offset:         184
        .size:           2
        .value_kind:     hidden_grid_dims
    .group_segment_fixed_size: 0
    .kernarg_segment_align: 8
    .kernarg_segment_size: 376
    .language:       OpenCL C
    .language_version:
      - 2
      - 0
    .max_flat_workgroup_size: 512
    .name:           _ZL18rocblas_rot_kernelIiLi512E19rocblas_complex_numIdEPKPS1_S4_dS1_EviT2_lllT3_lllT4_lT5_li
    .private_segment_fixed_size: 0
    .sgpr_count:     18
    .sgpr_spill_count: 0
    .symbol:         _ZL18rocblas_rot_kernelIiLi512E19rocblas_complex_numIdEPKPS1_S4_dS1_EviT2_lllT3_lllT4_lT5_li.kd
    .uniform_work_group_size: 1
    .uses_dynamic_stack: false
    .vgpr_count:     20
    .vgpr_spill_count: 0
    .wavefront_size: 32
    .workgroup_processor_mode: 1
amdhsa.target:   amdgcn-amd-amdhsa--gfx1100
amdhsa.version:
  - 1
  - 2
...

	.end_amdgpu_metadata
